;; amdgpu-corpus repo=ROCm/rocFFT kind=compiled arch=gfx1030 opt=O3
	.text
	.amdgcn_target "amdgcn-amd-amdhsa--gfx1030"
	.amdhsa_code_object_version 6
	.protected	fft_rtc_back_len1700_factors_17_10_10_wgs_170_tpt_170_halfLds_dp_ip_CI_sbrr_dirReg ; -- Begin function fft_rtc_back_len1700_factors_17_10_10_wgs_170_tpt_170_halfLds_dp_ip_CI_sbrr_dirReg
	.globl	fft_rtc_back_len1700_factors_17_10_10_wgs_170_tpt_170_halfLds_dp_ip_CI_sbrr_dirReg
	.p2align	8
	.type	fft_rtc_back_len1700_factors_17_10_10_wgs_170_tpt_170_halfLds_dp_ip_CI_sbrr_dirReg,@function
fft_rtc_back_len1700_factors_17_10_10_wgs_170_tpt_170_halfLds_dp_ip_CI_sbrr_dirReg: ; @fft_rtc_back_len1700_factors_17_10_10_wgs_170_tpt_170_halfLds_dp_ip_CI_sbrr_dirReg
; %bb.0:
	s_clause 0x2
	s_load_dwordx2 s[14:15], s[4:5], 0x18
	s_load_dwordx4 s[8:11], s[4:5], 0x0
	s_load_dwordx2 s[12:13], s[4:5], 0x50
	v_mul_u32_u24_e32 v1, 0x182, v0
	v_mov_b32_e32 v3, 0
	v_add_nc_u32_sdwa v5, s6, v1 dst_sel:DWORD dst_unused:UNUSED_PAD src0_sel:DWORD src1_sel:WORD_1
	v_mov_b32_e32 v1, 0
	v_mov_b32_e32 v6, v3
	v_mov_b32_e32 v2, 0
	s_waitcnt lgkmcnt(0)
	s_load_dwordx2 s[2:3], s[14:15], 0x0
	v_cmp_lt_u64_e64 s0, s[10:11], 2
	s_and_b32 vcc_lo, exec_lo, s0
	s_cbranch_vccnz .LBB0_8
; %bb.1:
	s_load_dwordx2 s[0:1], s[4:5], 0x10
	v_mov_b32_e32 v1, 0
	s_add_u32 s6, s14, 8
	v_mov_b32_e32 v2, 0
	s_addc_u32 s7, s15, 0
	s_mov_b64 s[18:19], 1
	s_waitcnt lgkmcnt(0)
	s_add_u32 s16, s0, 8
	s_addc_u32 s17, s1, 0
.LBB0_2:                                ; =>This Inner Loop Header: Depth=1
	s_load_dwordx2 s[20:21], s[16:17], 0x0
                                        ; implicit-def: $vgpr7_vgpr8
	s_mov_b32 s0, exec_lo
	s_waitcnt lgkmcnt(0)
	v_or_b32_e32 v4, s21, v6
	v_cmpx_ne_u64_e32 0, v[3:4]
	s_xor_b32 s1, exec_lo, s0
	s_cbranch_execz .LBB0_4
; %bb.3:                                ;   in Loop: Header=BB0_2 Depth=1
	v_cvt_f32_u32_e32 v4, s20
	v_cvt_f32_u32_e32 v7, s21
	s_sub_u32 s0, 0, s20
	s_subb_u32 s22, 0, s21
	v_fmac_f32_e32 v4, 0x4f800000, v7
	v_rcp_f32_e32 v4, v4
	v_mul_f32_e32 v4, 0x5f7ffffc, v4
	v_mul_f32_e32 v7, 0x2f800000, v4
	v_trunc_f32_e32 v7, v7
	v_fmac_f32_e32 v4, 0xcf800000, v7
	v_cvt_u32_f32_e32 v7, v7
	v_cvt_u32_f32_e32 v4, v4
	v_mul_lo_u32 v8, s0, v7
	v_mul_hi_u32 v9, s0, v4
	v_mul_lo_u32 v10, s22, v4
	v_add_nc_u32_e32 v8, v9, v8
	v_mul_lo_u32 v9, s0, v4
	v_add_nc_u32_e32 v8, v8, v10
	v_mul_hi_u32 v10, v4, v9
	v_mul_lo_u32 v11, v4, v8
	v_mul_hi_u32 v12, v4, v8
	v_mul_hi_u32 v13, v7, v9
	v_mul_lo_u32 v9, v7, v9
	v_mul_hi_u32 v14, v7, v8
	v_mul_lo_u32 v8, v7, v8
	v_add_co_u32 v10, vcc_lo, v10, v11
	v_add_co_ci_u32_e32 v11, vcc_lo, 0, v12, vcc_lo
	v_add_co_u32 v9, vcc_lo, v10, v9
	v_add_co_ci_u32_e32 v9, vcc_lo, v11, v13, vcc_lo
	v_add_co_ci_u32_e32 v10, vcc_lo, 0, v14, vcc_lo
	v_add_co_u32 v8, vcc_lo, v9, v8
	v_add_co_ci_u32_e32 v9, vcc_lo, 0, v10, vcc_lo
	v_add_co_u32 v4, vcc_lo, v4, v8
	v_add_co_ci_u32_e32 v7, vcc_lo, v7, v9, vcc_lo
	v_mul_hi_u32 v8, s0, v4
	v_mul_lo_u32 v10, s22, v4
	v_mul_lo_u32 v9, s0, v7
	v_add_nc_u32_e32 v8, v8, v9
	v_mul_lo_u32 v9, s0, v4
	v_add_nc_u32_e32 v8, v8, v10
	v_mul_hi_u32 v10, v4, v9
	v_mul_lo_u32 v11, v4, v8
	v_mul_hi_u32 v12, v4, v8
	v_mul_hi_u32 v13, v7, v9
	v_mul_lo_u32 v9, v7, v9
	v_mul_hi_u32 v14, v7, v8
	v_mul_lo_u32 v8, v7, v8
	v_add_co_u32 v10, vcc_lo, v10, v11
	v_add_co_ci_u32_e32 v11, vcc_lo, 0, v12, vcc_lo
	v_add_co_u32 v9, vcc_lo, v10, v9
	v_add_co_ci_u32_e32 v9, vcc_lo, v11, v13, vcc_lo
	v_add_co_ci_u32_e32 v10, vcc_lo, 0, v14, vcc_lo
	v_add_co_u32 v8, vcc_lo, v9, v8
	v_add_co_ci_u32_e32 v9, vcc_lo, 0, v10, vcc_lo
	v_add_co_u32 v4, vcc_lo, v4, v8
	v_add_co_ci_u32_e32 v11, vcc_lo, v7, v9, vcc_lo
	v_mul_hi_u32 v13, v5, v4
	v_mad_u64_u32 v[9:10], null, v6, v4, 0
	v_mad_u64_u32 v[7:8], null, v5, v11, 0
	;; [unrolled: 1-line block ×3, first 2 shown]
	v_add_co_u32 v4, vcc_lo, v13, v7
	v_add_co_ci_u32_e32 v7, vcc_lo, 0, v8, vcc_lo
	v_add_co_u32 v4, vcc_lo, v4, v9
	v_add_co_ci_u32_e32 v4, vcc_lo, v7, v10, vcc_lo
	v_add_co_ci_u32_e32 v7, vcc_lo, 0, v12, vcc_lo
	v_add_co_u32 v4, vcc_lo, v4, v11
	v_add_co_ci_u32_e32 v9, vcc_lo, 0, v7, vcc_lo
	v_mul_lo_u32 v10, s21, v4
	v_mad_u64_u32 v[7:8], null, s20, v4, 0
	v_mul_lo_u32 v11, s20, v9
	v_sub_co_u32 v7, vcc_lo, v5, v7
	v_add3_u32 v8, v8, v11, v10
	v_sub_nc_u32_e32 v10, v6, v8
	v_subrev_co_ci_u32_e64 v10, s0, s21, v10, vcc_lo
	v_add_co_u32 v11, s0, v4, 2
	v_add_co_ci_u32_e64 v12, s0, 0, v9, s0
	v_sub_co_u32 v13, s0, v7, s20
	v_sub_co_ci_u32_e32 v8, vcc_lo, v6, v8, vcc_lo
	v_subrev_co_ci_u32_e64 v10, s0, 0, v10, s0
	v_cmp_le_u32_e32 vcc_lo, s20, v13
	v_cmp_eq_u32_e64 s0, s21, v8
	v_cndmask_b32_e64 v13, 0, -1, vcc_lo
	v_cmp_le_u32_e32 vcc_lo, s21, v10
	v_cndmask_b32_e64 v14, 0, -1, vcc_lo
	v_cmp_le_u32_e32 vcc_lo, s20, v7
	;; [unrolled: 2-line block ×3, first 2 shown]
	v_cndmask_b32_e64 v15, 0, -1, vcc_lo
	v_cmp_eq_u32_e32 vcc_lo, s21, v10
	v_cndmask_b32_e64 v7, v15, v7, s0
	v_cndmask_b32_e32 v10, v14, v13, vcc_lo
	v_add_co_u32 v13, vcc_lo, v4, 1
	v_add_co_ci_u32_e32 v14, vcc_lo, 0, v9, vcc_lo
	v_cmp_ne_u32_e32 vcc_lo, 0, v10
	v_cndmask_b32_e32 v8, v14, v12, vcc_lo
	v_cndmask_b32_e32 v10, v13, v11, vcc_lo
	v_cmp_ne_u32_e32 vcc_lo, 0, v7
	v_cndmask_b32_e32 v8, v9, v8, vcc_lo
	v_cndmask_b32_e32 v7, v4, v10, vcc_lo
.LBB0_4:                                ;   in Loop: Header=BB0_2 Depth=1
	s_andn2_saveexec_b32 s0, s1
	s_cbranch_execz .LBB0_6
; %bb.5:                                ;   in Loop: Header=BB0_2 Depth=1
	v_cvt_f32_u32_e32 v4, s20
	s_sub_i32 s1, 0, s20
	v_rcp_iflag_f32_e32 v4, v4
	v_mul_f32_e32 v4, 0x4f7ffffe, v4
	v_cvt_u32_f32_e32 v4, v4
	v_mul_lo_u32 v7, s1, v4
	v_mul_hi_u32 v7, v4, v7
	v_add_nc_u32_e32 v4, v4, v7
	v_mul_hi_u32 v4, v5, v4
	v_mul_lo_u32 v7, v4, s20
	v_add_nc_u32_e32 v8, 1, v4
	v_sub_nc_u32_e32 v7, v5, v7
	v_subrev_nc_u32_e32 v9, s20, v7
	v_cmp_le_u32_e32 vcc_lo, s20, v7
	v_cndmask_b32_e32 v7, v7, v9, vcc_lo
	v_cndmask_b32_e32 v4, v4, v8, vcc_lo
	v_cmp_le_u32_e32 vcc_lo, s20, v7
	v_add_nc_u32_e32 v8, 1, v4
	v_cndmask_b32_e32 v7, v4, v8, vcc_lo
	v_mov_b32_e32 v8, v3
.LBB0_6:                                ;   in Loop: Header=BB0_2 Depth=1
	s_or_b32 exec_lo, exec_lo, s0
	s_load_dwordx2 s[0:1], s[6:7], 0x0
	v_mul_lo_u32 v4, v8, s20
	v_mul_lo_u32 v11, v7, s21
	v_mad_u64_u32 v[9:10], null, v7, s20, 0
	s_add_u32 s18, s18, 1
	s_addc_u32 s19, s19, 0
	s_add_u32 s6, s6, 8
	s_addc_u32 s7, s7, 0
	;; [unrolled: 2-line block ×3, first 2 shown]
	v_add3_u32 v4, v10, v11, v4
	v_sub_co_u32 v5, vcc_lo, v5, v9
	v_sub_co_ci_u32_e32 v4, vcc_lo, v6, v4, vcc_lo
	s_waitcnt lgkmcnt(0)
	v_mul_lo_u32 v6, s1, v5
	v_mul_lo_u32 v4, s0, v4
	v_mad_u64_u32 v[1:2], null, s0, v5, v[1:2]
	v_cmp_ge_u64_e64 s0, s[18:19], s[10:11]
	s_and_b32 vcc_lo, exec_lo, s0
	v_add3_u32 v2, v6, v2, v4
	s_cbranch_vccnz .LBB0_9
; %bb.7:                                ;   in Loop: Header=BB0_2 Depth=1
	v_mov_b32_e32 v5, v7
	v_mov_b32_e32 v6, v8
	s_branch .LBB0_2
.LBB0_8:
	v_mov_b32_e32 v8, v6
	v_mov_b32_e32 v7, v5
.LBB0_9:
	s_lshl_b64 s[0:1], s[10:11], 3
	v_mul_hi_u32 v3, 0x1818182, v0
	s_add_u32 s0, s14, s0
	s_addc_u32 s1, s15, s1
	v_mov_b32_e32 v103, 0
	s_load_dwordx2 s[0:1], s[0:1], 0x0
	s_load_dwordx2 s[4:5], s[4:5], 0x20
                                        ; implicit-def: $vgpr18_vgpr19
                                        ; implicit-def: $vgpr22_vgpr23
                                        ; implicit-def: $vgpr26_vgpr27
                                        ; implicit-def: $vgpr30_vgpr31
                                        ; implicit-def: $vgpr34_vgpr35
                                        ; implicit-def: $vgpr38_vgpr39
                                        ; implicit-def: $vgpr14_vgpr15
                                        ; implicit-def: $vgpr10_vgpr11
                                        ; implicit-def: $vgpr46_vgpr47
                                        ; implicit-def: $vgpr50_vgpr51
                                        ; implicit-def: $vgpr58_vgpr59
                                        ; implicit-def: $vgpr62_vgpr63
                                        ; implicit-def: $vgpr42_vgpr43
                                        ; implicit-def: $vgpr54_vgpr55
                                        ; implicit-def: $vgpr66_vgpr67
	s_waitcnt lgkmcnt(0)
	v_mul_lo_u32 v4, s0, v8
	v_mul_lo_u32 v5, s1, v7
	v_mad_u64_u32 v[88:89], null, s0, v7, v[1:2]
	v_mul_u32_u24_e32 v1, 0xaa, v3
	v_cmp_gt_u64_e32 vcc_lo, s[4:5], v[7:8]
                                        ; implicit-def: $vgpr6_vgpr7
                                        ; implicit-def: $vgpr2_vgpr3
	v_sub_nc_u32_e32 v102, v0, v1
	v_add3_u32 v89, v5, v89, v4
	s_and_saveexec_b32 s1, vcc_lo
	s_cbranch_execz .LBB0_13
; %bb.10:
	s_mov_b32 s4, exec_lo
                                        ; implicit-def: $vgpr0_vgpr1
                                        ; implicit-def: $vgpr64_vgpr65
                                        ; implicit-def: $vgpr52_vgpr53
                                        ; implicit-def: $vgpr40_vgpr41
                                        ; implicit-def: $vgpr60_vgpr61
                                        ; implicit-def: $vgpr56_vgpr57
                                        ; implicit-def: $vgpr48_vgpr49
                                        ; implicit-def: $vgpr44_vgpr45
                                        ; implicit-def: $vgpr8_vgpr9
                                        ; implicit-def: $vgpr12_vgpr13
                                        ; implicit-def: $vgpr36_vgpr37
                                        ; implicit-def: $vgpr32_vgpr33
                                        ; implicit-def: $vgpr28_vgpr29
                                        ; implicit-def: $vgpr24_vgpr25
                                        ; implicit-def: $vgpr20_vgpr21
                                        ; implicit-def: $vgpr16_vgpr17
                                        ; implicit-def: $vgpr4_vgpr5
	v_cmpx_gt_u32_e32 0x64, v102
	s_cbranch_execz .LBB0_12
; %bb.11:
	v_add_nc_u32_e32 v10, 0x64, v102
	v_mad_u64_u32 v[0:1], null, s2, v102, 0
	v_lshlrev_b64 v[4:5], 4, v[88:89]
	v_add_nc_u32_e32 v12, 0xc8, v102
	v_mad_u64_u32 v[2:3], null, s2, v10, 0
	v_add_nc_u32_e32 v13, 0x12c, v102
	v_add_nc_u32_e32 v14, 0x190, v102
	v_mad_u64_u32 v[6:7], null, s2, v12, 0
	v_add_co_u32 v32, s0, s12, v4
	v_mad_u64_u32 v[8:9], null, s3, v102, v[1:2]
	v_mad_u64_u32 v[9:10], null, s3, v10, v[3:4]
	;; [unrolled: 1-line block ×3, first 2 shown]
	v_add_co_ci_u32_e64 v33, s0, s13, v5, s0
	v_mov_b32_e32 v4, v7
	v_mov_b32_e32 v1, v8
	;; [unrolled: 1-line block ×3, first 2 shown]
	v_add_nc_u32_e32 v17, 0x1f4, v102
	v_mov_b32_e32 v5, v11
	v_add_nc_u32_e32 v19, 0x258, v102
	v_lshlrev_b64 v[0:1], 4, v[0:1]
	v_lshlrev_b64 v[2:3], 4, v[2:3]
	v_add_nc_u32_e32 v23, 0x3e8, v102
	v_mad_u64_u32 v[7:8], null, s3, v12, v[4:5]
	v_mad_u64_u32 v[4:5], null, s3, v13, v[5:6]
	;; [unrolled: 1-line block ×3, first 2 shown]
	v_add_co_u32 v0, s0, v32, v0
	v_add_co_ci_u32_e64 v1, s0, v33, v1, s0
	v_mov_b32_e32 v11, v4
	v_add_co_u32 v4, s0, v32, v2
	v_mov_b32_e32 v2, v9
	v_lshlrev_b64 v[6:7], 4, v[6:7]
	v_lshlrev_b64 v[9:10], 4, v[10:11]
	v_mad_u64_u32 v[11:12], null, s2, v17, 0
	v_add_co_ci_u32_e64 v5, s0, v33, v3, s0
	v_mad_u64_u32 v[2:3], null, s3, v14, v[2:3]
	v_add_co_u32 v6, s0, v32, v6
	v_add_co_ci_u32_e64 v7, s0, v33, v7, s0
	v_mov_b32_e32 v3, v12
	v_add_co_u32 v13, s0, v32, v9
	v_add_co_ci_u32_e64 v14, s0, v33, v10, s0
	v_mov_b32_e32 v9, v2
	v_mad_u64_u32 v[15:16], null, s2, v19, 0
	v_mad_u64_u32 v[17:18], null, s3, v17, v[3:4]
	s_clause 0x3
	global_load_dwordx4 v[0:3], v[0:1], off
	global_load_dwordx4 v[64:67], v[4:5], off
	;; [unrolled: 1-line block ×4, first 2 shown]
	v_add_nc_u32_e32 v14, 0x2bc, v102
	v_lshlrev_b64 v[4:5], 4, v[8:9]
	v_add_nc_u32_e32 v26, 0x44c, v102
	v_mov_b32_e32 v6, v16
	v_add_nc_u32_e32 v30, 0x514, v102
	v_mad_u64_u32 v[7:8], null, s2, v14, 0
	v_mov_b32_e32 v12, v17
	v_add_nc_u32_e32 v17, 0x320, v102
	v_add_co_u32 v4, s0, v32, v4
	v_add_co_ci_u32_e64 v5, s0, v33, v5, s0
	v_mad_u64_u32 v[9:10], null, s3, v19, v[6:7]
	v_lshlrev_b64 v[10:11], 4, v[11:12]
	v_mad_u64_u32 v[12:13], null, s2, v17, 0
	v_mov_b32_e32 v6, v8
	v_add_nc_u32_e32 v31, 0x578, v102
	v_add_nc_u32_e32 v34, 0x5dc, v102
	v_mov_b32_e32 v16, v9
	v_mad_u64_u32 v[8:9], null, s3, v14, v[6:7]
	v_add_co_u32 v9, s0, v32, v10
	v_mov_b32_e32 v6, v13
	v_add_co_ci_u32_e64 v10, s0, v33, v11, s0
	v_add_nc_u32_e32 v11, 0x384, v102
	v_lshlrev_b64 v[13:14], 4, v[15:16]
	v_mad_u64_u32 v[15:16], null, s3, v17, v[6:7]
	v_lshlrev_b64 v[6:7], 4, v[7:8]
	v_mad_u64_u32 v[16:17], null, s2, v11, 0
	v_add_co_u32 v18, s0, v32, v13
	v_add_co_ci_u32_e64 v19, s0, v33, v14, s0
	v_mov_b32_e32 v13, v15
	v_mad_u64_u32 v[14:15], null, s2, v23, 0
	v_mov_b32_e32 v8, v17
	v_add_co_u32 v6, s0, v32, v6
	v_add_co_ci_u32_e64 v7, s0, v33, v7, s0
	v_mad_u64_u32 v[20:21], null, s3, v11, v[8:9]
	v_mad_u64_u32 v[21:22], null, s2, v26, 0
	v_mov_b32_e32 v8, v15
	v_lshlrev_b64 v[11:12], 4, v[12:13]
	s_clause 0x3
	global_load_dwordx4 v[60:63], v[4:5], off
	global_load_dwordx4 v[56:59], v[9:10], off
	;; [unrolled: 1-line block ×4, first 2 shown]
	v_mov_b32_e32 v17, v20
	v_add_nc_u32_e32 v20, 0x4b0, v102
	v_mad_u64_u32 v[23:24], null, s3, v23, v[8:9]
	v_mov_b32_e32 v8, v22
	v_lshlrev_b64 v[16:17], 4, v[16:17]
	v_mad_u64_u32 v[24:25], null, s2, v20, 0
	v_add_co_u32 v11, s0, v32, v11
	v_mad_u64_u32 v[26:27], null, s3, v26, v[8:9]
	v_mov_b32_e32 v15, v23
	v_add_co_ci_u32_e64 v12, s0, v33, v12, s0
	v_mov_b32_e32 v8, v25
	v_add_co_u32 v16, s0, v32, v16
	v_lshlrev_b64 v[13:14], 4, v[14:15]
	v_mov_b32_e32 v22, v26
	v_add_co_ci_u32_e64 v17, s0, v33, v17, s0
	v_mad_u64_u32 v[25:26], null, s3, v20, v[8:9]
	v_add_co_u32 v26, s0, v32, v13
	v_add_co_ci_u32_e64 v27, s0, v33, v14, s0
	v_lshlrev_b64 v[13:14], 4, v[21:22]
	v_mad_u64_u32 v[20:21], null, s2, v30, 0
	v_mad_u64_u32 v[22:23], null, s2, v31, 0
	v_add_co_u32 v28, s0, v32, v13
	v_add_co_ci_u32_e64 v29, s0, v33, v14, s0
	v_mov_b32_e32 v8, v21
	v_mov_b32_e32 v15, v23
	v_lshlrev_b64 v[13:14], 4, v[24:25]
	v_mad_u64_u32 v[23:24], null, s3, v30, v[8:9]
	v_mad_u64_u32 v[24:25], null, s3, v31, v[15:16]
	;; [unrolled: 1-line block ×3, first 2 shown]
	v_add_nc_u32_e32 v15, 0x640, v102
	v_add_co_u32 v68, s0, v32, v13
	v_add_co_ci_u32_e64 v69, s0, v33, v14, s0
	v_mad_u64_u32 v[13:14], null, s2, v15, 0
	v_mov_b32_e32 v8, v31
	v_mov_b32_e32 v21, v23
	;; [unrolled: 1-line block ×3, first 2 shown]
	v_mad_u64_u32 v[4:5], null, s3, v34, v[8:9]
	v_lshlrev_b64 v[6:7], 4, v[20:21]
	v_mov_b32_e32 v5, v14
	v_mad_u64_u32 v[8:9], null, s3, v15, v[5:6]
	v_mov_b32_e32 v31, v4
	v_lshlrev_b64 v[9:10], 4, v[22:23]
	v_add_co_u32 v4, s0, v32, v6
	v_add_co_ci_u32_e64 v5, s0, v33, v7, s0
	v_mov_b32_e32 v14, v8
	v_lshlrev_b64 v[6:7], 4, v[30:31]
	v_add_co_u32 v18, s0, v32, v9
	v_add_co_ci_u32_e64 v19, s0, v33, v10, s0
	v_lshlrev_b64 v[20:21], 4, v[13:14]
	v_add_co_u32 v6, s0, v32, v6
	v_add_co_ci_u32_e64 v7, s0, v33, v7, s0
	s_clause 0x1
	global_load_dwordx4 v[8:11], v[11:12], off
	global_load_dwordx4 v[12:15], v[16:17], off
	v_add_co_u32 v70, s0, v32, v20
	v_add_co_ci_u32_e64 v71, s0, v33, v21, s0
	s_clause 0x6
	global_load_dwordx4 v[36:39], v[26:27], off
	global_load_dwordx4 v[32:35], v[28:29], off
	;; [unrolled: 1-line block ×7, first 2 shown]
.LBB0_12:
	s_or_b32 exec_lo, exec_lo, s4
	v_mov_b32_e32 v103, v102
.LBB0_13:
	s_or_b32 exec_lo, exec_lo, s1
	v_cmp_gt_u32_e64 s0, 0x64, v102
	s_and_saveexec_b32 s1, s0
	s_cbranch_execz .LBB0_15
; %bb.14:
	s_waitcnt vmcnt(0)
	v_add_f64 v[70:71], v[4:5], v[64:65]
	s_mov_b32 s4, 0x2b2883cd
	s_mov_b32 s20, 0x3259b75e
	;; [unrolled: 1-line block ×10, first 2 shown]
	v_add_f64 v[68:69], v[66:67], -v[6:7]
	v_add_f64 v[76:77], v[16:17], v[52:53]
	v_add_f64 v[130:131], v[64:65], v[0:1]
	s_mov_b32 s10, 0x7c9e640b
	s_mov_b32 s22, 0x6ed5f1bb
	;; [unrolled: 1-line block ×8, first 2 shown]
	v_mul_f64 v[74:75], v[70:71], s[4:5]
	v_mul_f64 v[78:79], v[70:71], s[28:29]
	;; [unrolled: 1-line block ×5, first 2 shown]
	s_mov_b32 s23, 0xbfe348c8
	s_mov_b32 s19, 0xbfefdd0d
	s_mov_b32 s17, 0xbfe58eea
	s_mov_b32 s27, 0xbfef7484
	s_mov_b32 s37, 0x3feec746
	s_mov_b32 s45, 0xbfeec746
	s_mov_b32 s44, s36
	s_mov_b32 s43, 0x3fe0d888
	s_mov_b32 s47, 0xbfe0d888
	s_mov_b32 s46, s42
	v_add_f64 v[72:73], v[54:55], -v[18:19]
	v_add_f64 v[86:87], v[20:21], v[40:41]
	v_mul_f64 v[100:101], v[76:77], s[22:23]
	v_mul_f64 v[98:99], v[76:77], s[20:21]
	;; [unrolled: 1-line block ×5, first 2 shown]
	v_fma_f64 v[106:107], v[68:69], s[10:11], v[74:75]
	v_fma_f64 v[108:109], v[68:69], s[16:17], v[78:79]
	;; [unrolled: 1-line block ×4, first 2 shown]
	v_mul_f64 v[120:121], v[76:77], s[4:5]
	v_fma_f64 v[124:125], v[68:69], s[46:47], v[104:105]
	v_add_f64 v[130:131], v[52:53], v[130:131]
	s_mov_b32 s6, 0x6c9a05f6
	s_mov_b32 s24, 0xacd6c6b4
	;; [unrolled: 1-line block ×10, first 2 shown]
	v_add_f64 v[82:83], v[42:43], -v[22:23]
	v_add_f64 v[84:85], v[24:25], v[60:61]
	v_mul_f64 v[94:95], v[86:87], s[26:27]
	v_mul_f64 v[96:97], v[86:87], s[22:23]
	;; [unrolled: 1-line block ×3, first 2 shown]
	v_fma_f64 v[126:127], v[72:73], s[14:15], v[100:101]
	v_fma_f64 v[128:129], v[72:73], s[18:19], v[98:99]
	v_add_f64 v[106:107], v[0:1], v[106:107]
	v_fma_f64 v[132:133], v[68:69], s[14:15], v[110:111]
	v_add_f64 v[108:109], v[0:1], v[108:109]
	v_mul_f64 v[134:135], v[86:87], s[28:29]
	v_mul_f64 v[136:137], v[86:87], s[30:31]
	v_fma_f64 v[138:139], v[72:73], s[42:43], v[112:113]
	v_fma_f64 v[140:141], v[72:73], s[34:35], v[114:115]
	v_add_f64 v[116:117], v[0:1], v[116:117]
	v_add_f64 v[118:119], v[0:1], v[118:119]
	v_mul_f64 v[148:149], v[86:87], s[20:21]
	v_fma_f64 v[150:151], v[72:73], s[48:49], v[120:121]
	v_add_f64 v[124:125], v[0:1], v[124:125]
	v_add_f64 v[130:131], v[40:41], v[130:131]
	s_mov_b32 s56, 0x370991
	s_mov_b32 s41, 0x3fe58eea
	;; [unrolled: 1-line block ×4, first 2 shown]
	v_add_f64 v[80:81], v[62:63], -v[26:27]
	v_add_f64 v[142:143], v[28:29], v[56:57]
	v_mul_f64 v[144:145], v[84:85], s[30:31]
	v_mul_f64 v[146:147], v[84:85], s[26:27]
	v_fma_f64 v[152:153], v[82:83], s[24:25], v[94:95]
	v_fma_f64 v[154:155], v[82:83], s[14:15], v[96:97]
	;; [unrolled: 1-line block ×3, first 2 shown]
	v_add_f64 v[132:133], v[0:1], v[132:133]
	v_add_f64 v[106:107], v[126:127], v[106:107]
	v_mul_f64 v[126:127], v[86:87], s[56:57]
	v_add_f64 v[108:109], v[128:129], v[108:109]
	v_fma_f64 v[128:129], v[82:83], s[40:41], v[134:135]
	v_fma_f64 v[158:159], v[82:83], s[36:37], v[136:137]
	v_add_f64 v[116:117], v[138:139], v[116:117]
	v_add_f64 v[118:119], v[140:141], v[118:119]
	v_mul_f64 v[138:139], v[84:85], s[4:5]
	v_mul_f64 v[160:161], v[84:85], s[56:57]
	;; [unrolled: 1-line block ×3, first 2 shown]
	v_fma_f64 v[166:167], v[82:83], s[18:19], v[148:149]
	v_add_f64 v[124:125], v[150:151], v[124:125]
	v_add_f64 v[130:131], v[60:61], v[130:131]
	s_mov_b32 s50, 0x5d8e7cdc
	s_mov_b32 s51, 0xbfd71e95
	;; [unrolled: 1-line block ×4, first 2 shown]
	v_add_f64 v[140:141], v[58:59], -v[30:31]
	v_mul_f64 v[162:163], v[142:143], s[28:29]
	v_mul_f64 v[150:151], v[142:143], s[38:39]
	v_fma_f64 v[168:169], v[80:81], s[36:37], v[144:145]
	v_fma_f64 v[170:171], v[80:81], s[34:35], v[146:147]
	v_add_f64 v[132:133], v[156:157], v[132:133]
	v_mul_f64 v[156:157], v[84:85], s[38:39]
	v_fma_f64 v[172:173], v[82:83], s[50:51], v[126:127]
	v_add_f64 v[106:107], v[152:153], v[106:107]
	v_add_f64 v[108:109], v[154:155], v[108:109]
	v_mul_f64 v[152:153], v[70:71], s[26:27]
	v_add_f64 v[116:117], v[128:129], v[116:117]
	v_add_f64 v[118:119], v[158:159], v[118:119]
	;; [unrolled: 1-line block ×3, first 2 shown]
	v_mul_f64 v[154:155], v[142:143], s[26:27]
	v_fma_f64 v[158:159], v[80:81], s[10:11], v[138:139]
	v_fma_f64 v[174:175], v[80:81], s[52:53], v[160:161]
	v_mul_f64 v[176:177], v[142:143], s[4:5]
	v_fma_f64 v[178:179], v[80:81], s[6:7], v[164:165]
	v_add_f64 v[124:125], v[166:167], v[124:125]
	v_mul_f64 v[166:167], v[142:143], s[56:57]
	v_add_f64 v[130:131], v[56:57], v[130:131]
	v_mul_f64 v[180:181], v[142:143], s[20:21]
	s_mov_b32 s55, 0x3fefdd0d
	v_fma_f64 v[184:185], v[140:141], s[42:43], v[150:151]
	s_mov_b32 s54, s18
	v_mul_f64 v[202:203], v[86:87], s[38:39]
	v_add_f64 v[204:205], v[46:47], -v[38:39]
	v_fma_f64 v[182:183], v[80:81], s[46:47], v[156:157]
	v_add_f64 v[132:133], v[172:173], v[132:133]
	v_fma_f64 v[172:173], v[140:141], s[40:41], v[162:163]
	v_add_f64 v[106:107], v[168:169], v[106:107]
	v_mul_f64 v[168:169], v[76:77], s[56:57]
	v_fma_f64 v[186:187], v[68:69], s[24:25], v[152:153]
	v_add_f64 v[108:109], v[170:171], v[108:109]
	v_add_f64 v[170:171], v[50:51], -v[34:35]
	v_mul_f64 v[188:189], v[128:129], s[56:57]
	v_fma_f64 v[190:191], v[140:141], s[34:35], v[154:155]
	v_add_f64 v[116:117], v[158:159], v[116:117]
	v_add_f64 v[118:119], v[174:175], v[118:119]
	;; [unrolled: 1-line block ×3, first 2 shown]
	v_fma_f64 v[192:193], v[140:141], s[10:11], v[176:177]
	v_add_f64 v[124:125], v[178:179], v[124:125]
	v_mul_f64 v[178:179], v[128:129], s[20:21]
	v_fma_f64 v[194:195], v[140:141], s[50:51], v[166:167]
	v_mul_f64 v[196:197], v[128:129], s[38:39]
	v_mul_f64 v[198:199], v[128:129], s[26:27]
	v_add_f64 v[130:131], v[48:49], v[130:131]
	v_mul_f64 v[200:201], v[128:129], s[28:29]
	v_fma_f64 v[152:153], v[68:69], s[34:35], v[152:153]
	v_mul_f64 v[70:71], v[70:71], s[56:57]
	v_add_f64 v[132:133], v[182:183], v[132:133]
	v_fma_f64 v[104:105], v[68:69], s[42:43], v[104:105]
	v_add_f64 v[106:107], v[172:173], v[106:107]
	v_fma_f64 v[172:173], v[140:141], s[54:55], v[180:181]
	v_fma_f64 v[182:183], v[72:73], s[50:51], v[168:169]
	v_add_f64 v[186:187], v[0:1], v[186:187]
	v_add_f64 v[108:109], v[184:185], v[108:109]
	v_fma_f64 v[184:185], v[170:171], s[50:51], v[188:189]
	v_fma_f64 v[168:169], v[72:73], s[52:53], v[168:169]
	v_add_f64 v[116:117], v[190:191], v[116:117]
	v_fma_f64 v[110:111], v[68:69], s[6:7], v[110:111]
	v_mul_f64 v[206:207], v[158:159], s[20:21]
	v_add_f64 v[118:119], v[192:193], v[118:119]
	v_mul_f64 v[212:213], v[158:159], s[56:57]
	v_fma_f64 v[190:191], v[170:171], s[54:55], v[178:179]
	v_add_f64 v[124:125], v[194:195], v[124:125]
	v_fma_f64 v[192:193], v[170:171], s[46:47], v[196:197]
	v_fma_f64 v[194:195], v[170:171], s[34:35], v[198:199]
	v_add_f64 v[130:131], v[44:45], v[130:131]
	v_mul_f64 v[76:77], v[76:77], s[28:29]
	v_add_f64 v[152:153], v[0:1], v[152:153]
	v_fma_f64 v[120:121], v[72:73], s[10:11], v[120:121]
	v_fma_f64 v[90:91], v[68:69], s[36:37], v[90:91]
	v_add_f64 v[104:105], v[0:1], v[104:105]
	v_fma_f64 v[92:93], v[68:69], s[54:55], v[92:93]
	v_add_f64 v[132:133], v[172:173], v[132:133]
	v_fma_f64 v[78:79], v[68:69], s[40:41], v[78:79]
	v_add_f64 v[172:173], v[182:183], v[186:187]
	v_fma_f64 v[182:183], v[170:171], s[16:17], v[200:201]
	v_add_f64 v[106:107], v[184:185], v[106:107]
	v_fma_f64 v[184:185], v[82:83], s[42:43], v[202:203]
	v_fma_f64 v[74:75], v[68:69], s[48:49], v[74:75]
	v_mul_f64 v[216:217], v[158:159], s[28:29]
	v_fma_f64 v[186:187], v[204:205], s[18:19], v[206:207]
	v_fma_f64 v[122:123], v[72:73], s[44:45], v[122:123]
	v_add_f64 v[110:111], v[0:1], v[110:111]
	v_add_f64 v[116:117], v[190:191], v[116:117]
	v_mul_f64 v[190:191], v[84:85], s[28:29]
	v_add_f64 v[118:119], v[192:193], v[118:119]
	v_add_f64 v[124:125], v[194:195], v[124:125]
	v_fma_f64 v[192:193], v[204:205], s[50:51], v[212:213]
	v_fma_f64 v[194:195], v[68:69], s[50:51], v[70:71]
	v_add_f64 v[130:131], v[8:9], v[130:131]
	v_fma_f64 v[68:69], v[68:69], s[52:53], v[70:71]
	v_add_f64 v[152:153], v[168:169], v[152:153]
	v_mul_f64 v[86:87], v[86:87], s[4:5]
	v_add_f64 v[104:105], v[120:121], v[104:105]
	v_add_f64 v[70:71], v[0:1], v[90:91]
	v_fma_f64 v[90:91], v[82:83], s[54:55], v[148:149]
	v_fma_f64 v[114:115], v[72:73], s[24:25], v[114:115]
	v_add_f64 v[132:133], v[182:183], v[132:133]
	v_add_f64 v[92:93], v[0:1], v[92:93]
	;; [unrolled: 1-line block ×3, first 2 shown]
	v_fma_f64 v[172:173], v[82:83], s[46:47], v[202:203]
	v_fma_f64 v[98:99], v[72:73], s[54:55], v[98:99]
	v_add_f64 v[106:107], v[186:187], v[106:107]
	v_add_f64 v[78:79], v[0:1], v[78:79]
	v_fma_f64 v[112:113], v[72:73], s[46:47], v[112:113]
	v_fma_f64 v[100:101], v[72:73], s[6:7], v[100:101]
	;; [unrolled: 1-line block ×3, first 2 shown]
	v_add_f64 v[74:75], v[0:1], v[74:75]
	v_fma_f64 v[202:203], v[204:205], s[40:41], v[216:217]
	v_add_f64 v[116:117], v[192:193], v[116:117]
	v_add_f64 v[186:187], v[0:1], v[194:195]
	v_fma_f64 v[192:193], v[72:73], s[16:17], v[76:77]
	v_add_f64 v[120:121], v[12:13], v[130:131]
	v_fma_f64 v[72:73], v[72:73], s[40:41], v[76:77]
	v_add_f64 v[0:1], v[0:1], v[68:69]
	v_add_f64 v[110:111], v[122:123], v[110:111]
	v_fma_f64 v[122:123], v[82:83], s[52:53], v[126:127]
	v_fma_f64 v[126:127], v[80:81], s[40:41], v[190:191]
	v_mul_f64 v[84:85], v[84:85], s[20:21]
	v_add_f64 v[90:91], v[90:91], v[104:105]
	v_add_f64 v[92:93], v[114:115], v[92:93]
	v_fma_f64 v[104:105], v[82:83], s[44:45], v[136:137]
	v_add_f64 v[130:131], v[172:173], v[152:153]
	v_fma_f64 v[172:173], v[82:83], s[10:11], v[86:87]
	v_mul_f64 v[184:185], v[142:143], s[22:23]
	v_add_f64 v[78:79], v[98:99], v[78:79]
	v_add_f64 v[68:69], v[112:113], v[70:71]
	v_fma_f64 v[70:71], v[82:83], s[16:17], v[134:135]
	v_add_f64 v[148:149], v[182:183], v[168:169]
	v_fma_f64 v[112:113], v[80:81], s[14:15], v[164:165]
	;; [unrolled: 2-line block ×3, first 2 shown]
	v_fma_f64 v[96:97], v[82:83], s[6:7], v[96:97]
	v_add_f64 v[168:169], v[192:193], v[186:187]
	v_add_f64 v[98:99], v[36:37], v[120:121]
	v_fma_f64 v[82:83], v[82:83], s[48:49], v[86:87]
	v_add_f64 v[0:1], v[72:73], v[0:1]
	v_add_f64 v[100:101], v[202:203], v[124:125]
	;; [unrolled: 1-line block ×3, first 2 shown]
	v_fma_f64 v[120:121], v[80:81], s[42:43], v[156:157]
	v_mul_f64 v[136:137], v[142:143], s[30:31]
	v_mul_f64 v[174:175], v[128:129], s[30:31]
	v_fma_f64 v[142:143], v[140:141], s[52:53], v[166:167]
	v_add_f64 v[92:93], v[104:105], v[92:93]
	v_add_f64 v[122:123], v[126:127], v[130:131]
	v_fma_f64 v[126:127], v[80:81], s[18:19], v[84:85]
	v_fma_f64 v[104:105], v[80:81], s[50:51], v[160:161]
	;; [unrolled: 1-line block ×4, first 2 shown]
	v_add_f64 v[68:69], v[70:71], v[68:69]
	v_fma_f64 v[70:71], v[80:81], s[48:49], v[138:139]
	v_add_f64 v[90:91], v[112:113], v[90:91]
	v_fma_f64 v[112:113], v[80:81], s[24:25], v[146:147]
	v_add_f64 v[74:75], v[94:95], v[74:75]
	v_add_f64 v[78:79], v[96:97], v[78:79]
	;; [unrolled: 1-line block ×4, first 2 shown]
	v_fma_f64 v[94:95], v[80:81], s[44:45], v[144:145]
	v_fma_f64 v[80:81], v[80:81], s[54:55], v[84:85]
	v_add_f64 v[0:1], v[82:83], v[0:1]
	v_fma_f64 v[138:139], v[140:141], s[14:15], v[184:185]
	v_add_f64 v[110:111], v[120:121], v[110:111]
	v_fma_f64 v[144:145], v[140:141], s[18:19], v[180:181]
	v_fma_f64 v[146:147], v[140:141], s[24:25], v[154:155]
	;; [unrolled: 1-line block ×3, first 2 shown]
	v_mul_f64 v[210:211], v[158:159], s[4:5]
	v_add_f64 v[76:77], v[12:13], v[8:9]
	v_mul_f64 v[214:215], v[158:159], s[22:23]
	v_add_f64 v[92:93], v[104:105], v[92:93]
	v_fma_f64 v[104:105], v[140:141], s[44:45], v[136:137]
	v_add_f64 v[114:115], v[152:153], v[148:149]
	v_fma_f64 v[148:149], v[140:141], s[48:49], v[176:177]
	;; [unrolled: 2-line block ×3, first 2 shown]
	v_mul_f64 v[120:121], v[158:159], s[26:27]
	v_add_f64 v[90:91], v[142:143], v[90:91]
	v_add_f64 v[78:79], v[112:113], v[78:79]
	;; [unrolled: 1-line block ×3, first 2 shown]
	v_mul_f64 v[126:127], v[128:129], s[4:5]
	v_mul_f64 v[128:129], v[128:129], s[22:23]
	v_add_f64 v[98:99], v[28:29], v[98:99]
	v_add_f64 v[74:75], v[94:95], v[74:75]
	v_fma_f64 v[112:113], v[140:141], s[16:17], v[162:163]
	v_add_f64 v[0:1], v[80:81], v[0:1]
	v_add_f64 v[122:123], v[138:139], v[122:123]
	v_mul_f64 v[140:141], v[158:159], s[30:31]
	v_fma_f64 v[142:143], v[170:171], s[24:25], v[198:199]
	v_add_f64 v[110:111], v[144:145], v[110:111]
	v_fma_f64 v[144:145], v[170:171], s[40:41], v[200:201]
	v_mul_f64 v[154:155], v[158:159], s[38:39]
	v_add_f64 v[108:109], v[208:209], v[108:109]
	v_fma_f64 v[208:209], v[204:205], s[48:49], v[210:211]
	v_add_f64 v[130:131], v[10:11], -v[14:15]
	v_add_f64 v[92:93], v[148:149], v[92:93]
	v_add_f64 v[68:69], v[146:147], v[68:69]
	v_fma_f64 v[146:147], v[170:171], s[18:19], v[178:179]
	v_fma_f64 v[148:149], v[170:171], s[42:43], v[196:197]
	v_mul_f64 v[86:87], v[76:77], s[38:39]
	v_add_f64 v[78:79], v[150:151], v[78:79]
	v_add_f64 v[104:105], v[104:105], v[124:125]
	v_fma_f64 v[138:139], v[170:171], s[10:11], v[126:127]
	v_fma_f64 v[126:127], v[170:171], s[48:49], v[126:127]
	;; [unrolled: 1-line block ×3, first 2 shown]
	v_add_f64 v[98:99], v[24:25], v[98:99]
	v_add_f64 v[74:75], v[112:113], v[74:75]
	v_fma_f64 v[112:113], v[170:171], s[52:53], v[188:189]
	v_fma_f64 v[150:151], v[170:171], s[44:45], v[174:175]
	v_fma_f64 v[128:129], v[170:171], s[6:7], v[128:129]
	v_add_f64 v[0:1], v[136:137], v[0:1]
	v_mul_f64 v[72:73], v[76:77], s[56:57]
	v_fma_f64 v[194:195], v[204:205], s[6:7], v[214:215]
	v_mul_f64 v[134:135], v[76:77], s[22:23]
	v_mul_f64 v[96:97], v[76:77], s[28:29]
	v_fma_f64 v[152:153], v[204:205], s[34:35], v[120:121]
	v_mul_f64 v[80:81], v[76:77], s[30:31]
	v_mul_f64 v[156:157], v[76:77], s[4:5]
	;; [unrolled: 1-line block ×3, first 2 shown]
	v_add_f64 v[90:91], v[142:143], v[90:91]
	v_fma_f64 v[136:137], v[204:205], s[16:17], v[216:217]
	v_add_f64 v[110:111], v[144:145], v[110:111]
	v_fma_f64 v[120:121], v[204:205], s[24:25], v[120:121]
	v_mul_f64 v[76:77], v[76:77], s[26:27]
	v_add_f64 v[114:115], v[138:139], v[114:115]
	v_fma_f64 v[138:139], v[204:205], s[36:37], v[140:141]
	v_add_f64 v[122:123], v[126:127], v[122:123]
	v_fma_f64 v[126:127], v[204:205], s[44:45], v[140:141]
	;; [unrolled: 2-line block ×3, first 2 shown]
	v_add_f64 v[98:99], v[20:21], v[98:99]
	v_add_f64 v[68:69], v[146:147], v[68:69]
	v_fma_f64 v[140:141], v[204:205], s[52:53], v[212:213]
	v_add_f64 v[92:93], v[148:149], v[92:93]
	v_fma_f64 v[142:143], v[204:205], s[14:15], v[214:215]
	v_add_f64 v[74:75], v[112:113], v[74:75]
	v_add_f64 v[78:79], v[150:151], v[78:79]
	v_fma_f64 v[112:113], v[204:205], s[54:55], v[206:207]
	v_fma_f64 v[144:145], v[204:205], s[10:11], v[210:211]
	;; [unrolled: 1-line block ×3, first 2 shown]
	v_add_f64 v[0:1], v[128:129], v[0:1]
	v_add_f64 v[108:109], v[208:209], v[108:109]
	v_fma_f64 v[84:85], v[130:131], s[46:47], v[86:87]
	v_fma_f64 v[82:83], v[130:131], s[52:53], v[72:73]
	v_add_f64 v[118:119], v[194:195], v[118:119]
	v_fma_f64 v[70:71], v[130:131], s[14:15], v[134:135]
	v_fma_f64 v[94:95], v[130:131], s[40:41], v[96:97]
	;; [unrolled: 3-line block ×3, first 2 shown]
	v_add_f64 v[114:115], v[138:139], v[114:115]
	v_fma_f64 v[138:139], v[130:131], s[18:19], v[158:159]
	v_add_f64 v[122:123], v[126:127], v[122:123]
	v_fma_f64 v[126:127], v[130:131], s[54:55], v[158:159]
	;; [unrolled: 2-line block ×5, first 2 shown]
	v_add_f64 v[98:99], v[16:17], v[98:99]
	v_add_f64 v[68:69], v[140:141], v[68:69]
	v_fma_f64 v[134:135], v[130:131], s[6:7], v[134:135]
	v_add_f64 v[92:93], v[142:143], v[92:93]
	v_fma_f64 v[96:97], v[130:131], s[16:17], v[96:97]
	v_add_f64 v[74:75], v[112:113], v[74:75]
	v_add_f64 v[78:79], v[144:145], v[78:79]
	v_fma_f64 v[86:87], v[130:131], s[42:43], v[86:87]
	v_fma_f64 v[72:73], v[130:131], s[50:51], v[72:73]
	;; [unrolled: 1-line block ×3, first 2 shown]
	v_add_f64 v[0:1], v[148:149], v[0:1]
	v_add_f64 v[84:85], v[84:85], v[106:107]
	;; [unrolled: 1-line block ×18, first 2 shown]
	v_mad_u32_u24 v76, 0x88, v102, 0
	ds_write2_b64 v76, v[82:83], v[84:85] offset0:2 offset1:3
	ds_write2_b64 v76, v[94:95], v[70:71] offset0:4 offset1:5
	;; [unrolled: 1-line block ×5, first 2 shown]
	ds_write2_b64 v76, v[98:99], v[104:105] offset1:1
	ds_write2_b64 v76, v[68:69], v[92:93] offset0:12 offset1:13
	ds_write2_b64 v76, v[74:75], v[72:73] offset0:14 offset1:15
	ds_write_b64 v76, v[0:1] offset:128
.LBB0_15:
	s_or_b32 exec_lo, exec_lo, s1
	v_lshl_add_u32 v90, v102, 3, 0
	s_waitcnt vmcnt(0) lgkmcnt(0)
	s_barrier
	buffer_gl0_inv
	v_add_nc_u32_e32 v91, 0x800, v90
	v_add_nc_u32_e32 v92, 0x1400, v90
	;; [unrolled: 1-line block ×4, first 2 shown]
	ds_read2_b64 v[68:71], v90 offset1:170
	ds_read2_b64 v[84:87], v91 offset0:84 offset1:254
	ds_read2_b64 v[80:83], v92 offset0:40 offset1:210
	;; [unrolled: 1-line block ×4, first 2 shown]
	s_waitcnt lgkmcnt(0)
	s_barrier
	buffer_gl0_inv
	s_and_saveexec_b32 s33, s0
	s_cbranch_execz .LBB0_17
; %bb.16:
	v_add_f64 v[0:1], v[66:67], v[2:3]
	v_add_f64 v[4:5], v[64:65], -v[4:5]
	s_mov_b32 s26, 0x5d8e7cdc
	s_mov_b32 s44, 0x2a9d6da3
	;; [unrolled: 1-line block ×15, first 2 shown]
	v_add_f64 v[66:67], v[6:7], v[66:67]
	s_mov_b32 s35, 0xbfc7851a
	v_add_f64 v[16:17], v[52:53], -v[16:17]
	v_add_f64 v[20:21], v[40:41], -v[20:21]
	v_add_f64 v[40:41], v[26:27], v[62:63]
	v_add_f64 v[0:1], v[54:55], v[0:1]
	v_add_f64 v[24:25], v[60:61], -v[24:25]
	v_add_f64 v[36:37], v[44:45], -v[36:37]
	v_mul_f64 v[44:45], v[4:5], s[26:27]
	v_mul_f64 v[60:61], v[4:5], s[44:45]
	;; [unrolled: 1-line block ×6, first 2 shown]
	s_mov_b32 s0, 0x370991
	s_mov_b32 s4, 0x75d4884
	;; [unrolled: 1-line block ×13, first 2 shown]
	v_add_f64 v[0:1], v[42:43], v[0:1]
	s_mov_b32 s50, s28
	s_mov_b32 s17, 0xbfe348c8
	;; [unrolled: 1-line block ×9, first 2 shown]
	v_add_f64 v[54:55], v[18:19], v[54:55]
	s_mov_b32 s39, 0x3fd71e95
	v_add_f64 v[28:29], v[56:57], -v[28:29]
	s_mov_b32 s38, s26
	v_mul_f64 v[104:105], v[16:17], s[44:45]
	v_mul_f64 v[106:107], v[16:17], s[30:31]
	;; [unrolled: 1-line block ×5, first 2 shown]
	v_fma_f64 v[174:175], v[66:67], s[0:1], -v[44:45]
	v_fma_f64 v[44:45], v[66:67], s[0:1], v[44:45]
	v_fma_f64 v[176:177], v[66:67], s[4:5], -v[60:61]
	v_add_f64 v[0:1], v[62:63], v[0:1]
	v_mul_f64 v[62:63], v[4:5], s[46:47]
	v_mul_f64 v[4:5], v[4:5], s[34:35]
	v_fma_f64 v[60:61], v[66:67], s[4:5], v[60:61]
	v_fma_f64 v[180:181], v[66:67], s[10:11], -v[64:65]
	v_fma_f64 v[64:65], v[66:67], s[10:11], v[64:65]
	v_fma_f64 v[182:183], v[66:67], s[14:15], -v[95:96]
	v_mul_f64 v[114:115], v[16:17], s[52:53]
	v_mul_f64 v[116:117], v[16:17], s[36:37]
	v_fma_f64 v[184:185], v[66:67], s[16:17], -v[97:98]
	v_fma_f64 v[97:98], v[66:67], s[16:17], v[97:98]
	v_fma_f64 v[186:187], v[66:67], s[18:19], -v[99:100]
	v_add_f64 v[32:33], v[48:49], -v[32:33]
	v_add_f64 v[48:49], v[38:39], v[46:47]
	v_mul_f64 v[16:17], v[16:17], s[38:39]
	v_fma_f64 v[99:100], v[66:67], s[18:19], v[99:100]
	v_fma_f64 v[95:96], v[66:67], s[14:15], v[95:96]
	s_mov_b32 s55, 0x3fc7851a
	s_mov_b32 s41, 0x3fe58eea
	;; [unrolled: 1-line block ×4, first 2 shown]
	v_add_f64 v[52:53], v[22:23], v[42:43]
	v_add_f64 v[0:1], v[58:59], v[0:1]
	v_fma_f64 v[178:179], v[66:67], s[6:7], -v[62:63]
	v_fma_f64 v[62:63], v[66:67], s[6:7], v[62:63]
	v_add_f64 v[42:43], v[30:31], v[58:59]
	v_mul_f64 v[118:119], v[20:21], s[46:47]
	v_mul_f64 v[120:121], v[20:21], s[24:25]
	;; [unrolled: 1-line block ×6, first 2 shown]
	v_fma_f64 v[188:189], v[54:55], s[10:11], -v[106:107]
	v_fma_f64 v[106:107], v[54:55], s[10:11], v[106:107]
	v_fma_f64 v[190:191], v[54:55], s[16:17], -v[108:109]
	v_fma_f64 v[108:109], v[54:55], s[16:17], v[108:109]
	;; [unrolled: 2-line block ×3, first 2 shown]
	v_fma_f64 v[194:195], v[54:55], s[18:19], -v[112:113]
	v_add_f64 v[174:175], v[2:3], v[174:175]
	v_add_f64 v[44:45], v[2:3], v[44:45]
	;; [unrolled: 1-line block ×9, first 2 shown]
	v_mul_f64 v[58:59], v[20:21], s[30:31]
	v_fma_f64 v[196:197], v[54:55], s[14:15], -v[114:115]
	v_fma_f64 v[114:115], v[54:55], s[14:15], v[114:115]
	v_fma_f64 v[198:199], v[54:55], s[6:7], -v[116:117]
	v_add_f64 v[97:98], v[2:3], v[97:98]
	v_add_f64 v[186:187], v[2:3], v[186:187]
	v_mul_f64 v[128:129], v[20:21], s[26:27]
	v_mul_f64 v[20:21], v[20:21], s[28:29]
	v_fma_f64 v[116:117], v[54:55], s[6:7], v[116:117]
	v_fma_f64 v[200:201], v[54:55], s[0:1], -v[16:17]
	v_add_f64 v[99:100], v[2:3], v[99:100]
	v_fma_f64 v[16:17], v[54:55], s[0:1], v[16:17]
	v_add_f64 v[180:181], v[2:3], v[180:181]
	v_add_f64 v[95:96], v[2:3], v[95:96]
	;; [unrolled: 1-line block ×3, first 2 shown]
	s_mov_b32 s49, 0x3fe9895b
	s_mov_b32 s48, s24
	;; [unrolled: 1-line block ×3, first 2 shown]
	v_add_f64 v[0:1], v[46:47], v[0:1]
	v_fma_f64 v[46:47], v[66:67], s[22:23], -v[4:5]
	v_fma_f64 v[4:5], v[66:67], s[22:23], v[4:5]
	v_fma_f64 v[66:67], v[54:55], s[4:5], -v[104:105]
	v_fma_f64 v[104:105], v[54:55], s[4:5], v[104:105]
	v_add_f64 v[56:57], v[34:35], v[50:51]
	s_mov_b32 s42, s30
	v_mul_f64 v[130:131], v[24:25], s[30:31]
	v_mul_f64 v[132:133], v[24:25], s[34:35]
	;; [unrolled: 1-line block ×5, first 2 shown]
	v_fma_f64 v[112:113], v[54:55], s[18:19], v[112:113]
	v_fma_f64 v[54:55], v[52:53], s[6:7], -v[118:119]
	v_fma_f64 v[118:119], v[52:53], s[6:7], v[118:119]
	v_fma_f64 v[202:203], v[52:53], s[16:17], -v[120:121]
	;; [unrolled: 2-line block ×5, first 2 shown]
	v_add_f64 v[0:1], v[10:11], v[0:1]
	v_add_f64 v[46:47], v[2:3], v[46:47]
	;; [unrolled: 1-line block ×3, first 2 shown]
	v_fma_f64 v[238:239], v[42:43], s[0:1], -v[156:157]
	v_add_f64 v[4:5], v[66:67], v[174:175]
	v_add_f64 v[44:45], v[104:105], v[44:45]
	;; [unrolled: 1-line block ×7, first 2 shown]
	v_mul_f64 v[142:143], v[24:25], s[48:49]
	v_fma_f64 v[212:213], v[52:53], s[10:11], -v[58:59]
	v_add_f64 v[97:98], v[114:115], v[97:98]
	v_add_f64 v[114:115], v[198:199], v[186:187]
	v_mul_f64 v[140:141], v[24:25], s[28:29]
	v_mul_f64 v[24:25], v[24:25], s[40:41]
	;; [unrolled: 1-line block ×7, first 2 shown]
	v_add_f64 v[0:1], v[14:15], v[0:1]
	v_mul_f64 v[154:155], v[28:29], s[42:43]
	v_mul_f64 v[28:29], v[28:29], s[24:25]
	v_fma_f64 v[58:59], v[52:53], s[10:11], v[58:59]
	v_fma_f64 v[214:215], v[52:53], s[18:19], -v[20:21]
	v_add_f64 v[99:100], v[116:117], v[99:100]
	v_add_f64 v[46:47], v[200:201], v[46:47]
	v_fma_f64 v[20:21], v[52:53], s[18:19], v[20:21]
	v_add_f64 v[2:3], v[16:17], v[2:3]
	v_fma_f64 v[126:127], v[52:53], s[4:5], v[126:127]
	v_fma_f64 v[210:211], v[52:53], s[0:1], -v[128:129]
	v_fma_f64 v[128:129], v[52:53], s[0:1], v[128:129]
	v_fma_f64 v[52:53], v[40:41], s[10:11], -v[130:131]
	v_fma_f64 v[216:217], v[40:41], s[22:23], -v[132:133]
	v_fma_f64 v[132:133], v[40:41], s[22:23], v[132:133]
	v_fma_f64 v[218:219], v[40:41], s[14:15], -v[134:135]
	v_fma_f64 v[134:135], v[40:41], s[14:15], v[134:135]
	;; [unrolled: 2-line block ×3, first 2 shown]
	v_fma_f64 v[222:223], v[40:41], s[6:7], -v[138:139]
	v_add_f64 v[4:5], v[54:55], v[4:5]
	v_add_f64 v[16:17], v[118:119], v[44:45]
	;; [unrolled: 1-line block ×8, first 2 shown]
	v_fma_f64 v[130:131], v[40:41], s[10:11], v[130:131]
	v_fma_f64 v[226:227], v[40:41], s[16:17], -v[142:143]
	v_add_f64 v[95:96], v[112:113], v[95:96]
	v_add_f64 v[114:115], v[212:213], v[114:115]
	v_fma_f64 v[138:139], v[40:41], s[6:7], v[138:139]
	v_fma_f64 v[224:225], v[40:41], s[18:19], -v[140:141]
	v_fma_f64 v[140:141], v[40:41], s[18:19], v[140:141]
	v_fma_f64 v[142:143], v[40:41], s[16:17], v[142:143]
	v_fma_f64 v[228:229], v[40:41], s[4:5], -v[24:25]
	v_fma_f64 v[24:25], v[40:41], s[4:5], v[24:25]
	v_fma_f64 v[40:41], v[42:43], s[14:15], -v[144:145]
	;; [unrolled: 2-line block ×4, first 2 shown]
	v_fma_f64 v[148:149], v[42:43], s[4:5], v[148:149]
	v_add_f64 v[0:1], v[34:35], v[0:1]
	v_fma_f64 v[34:35], v[42:43], s[0:1], v[156:157]
	v_add_f64 v[156:157], v[194:195], v[182:183]
	v_fma_f64 v[234:235], v[42:43], s[6:7], -v[150:151]
	v_fma_f64 v[150:151], v[42:43], s[6:7], v[150:151]
	v_fma_f64 v[38:39], v[42:43], s[22:23], -v[152:153]
	v_fma_f64 v[152:153], v[42:43], s[22:23], v[152:153]
	;; [unrolled: 2-line block ×4, first 2 shown]
	v_add_f64 v[42:43], v[192:193], v[180:181]
	v_add_f64 v[58:59], v[58:59], v[99:100]
	;; [unrolled: 1-line block ×5, first 2 shown]
	v_mul_f64 v[158:159], v[32:33], s[24:25]
	v_mul_f64 v[160:161], v[32:33], s[52:53]
	;; [unrolled: 1-line block ×6, first 2 shown]
	v_add_f64 v[0:1], v[30:31], v[0:1]
	v_mul_f64 v[168:169], v[32:33], s[34:35]
	v_add_f64 v[120:121], v[208:209], v[156:157]
	v_mul_f64 v[32:33], v[32:33], s[36:37]
	v_add_f64 v[97:98], v[128:129], v[97:98]
	v_add_f64 v[4:5], v[52:53], v[4:5]
	;; [unrolled: 1-line block ×15, first 2 shown]
	v_fma_f64 v[108:109], v[56:57], s[16:17], -v[158:159]
	v_fma_f64 v[110:111], v[56:57], s[16:17], v[158:159]
	v_fma_f64 v[30:31], v[56:57], s[14:15], -v[160:161]
	v_add_f64 v[0:1], v[26:27], v[0:1]
	v_fma_f64 v[66:67], v[56:57], s[14:15], v[160:161]
	v_add_f64 v[120:121], v[222:223], v[120:121]
	v_fma_f64 v[104:105], v[56:57], s[0:1], -v[162:163]
	v_fma_f64 v[116:117], v[56:57], s[0:1], v[162:163]
	v_fma_f64 v[118:119], v[56:57], s[18:19], -v[50:51]
	v_fma_f64 v[26:27], v[56:57], s[18:19], v[50:51]
	;; [unrolled: 2-line block ×4, first 2 shown]
	v_add_f64 v[97:98], v[140:141], v[97:98]
	v_add_f64 v[4:5], v[40:41], v[4:5]
	;; [unrolled: 1-line block ×4, first 2 shown]
	v_fma_f64 v[44:45], v[56:57], s[22:23], v[168:169]
	v_add_f64 v[52:53], v[148:149], v[54:55]
	v_fma_f64 v[54:55], v[56:57], s[6:7], -v[32:33]
	v_fma_f64 v[32:33], v[56:57], s[6:7], v[32:33]
	v_mul_f64 v[170:171], v[36:37], s[28:29]
	v_mul_f64 v[172:173], v[36:37], s[36:37]
	v_add_f64 v[95:96], v[138:139], v[95:96]
	v_add_f64 v[0:1], v[22:23], v[0:1]
	v_fma_f64 v[22:23], v[56:57], s[22:23], -v[168:169]
	v_add_f64 v[56:57], v[150:151], v[64:65]
	v_add_f64 v[38:39], v[38:39], v[120:121]
	;; [unrolled: 1-line block ×11, first 2 shown]
	v_mul_f64 v[58:59], v[36:37], s[26:27]
	v_add_f64 v[28:29], v[104:105], v[40:41]
	v_add_f64 v[8:9], v[8:9], -v[12:13]
	v_add_f64 v[40:41], v[116:117], v[52:53]
	v_mul_f64 v[52:53], v[36:37], s[48:49]
	v_add_f64 v[4:5], v[108:109], v[4:5]
	v_fma_f64 v[64:65], v[48:49], s[18:19], -v[170:171]
	v_add_f64 v[24:25], v[66:67], v[24:25]
	v_add_f64 v[95:96], v[152:153], v[95:96]
	;; [unrolled: 1-line block ×3, first 2 shown]
	v_mul_f64 v[18:19], v[36:37], s[30:31]
	v_add_f64 v[26:27], v[26:27], v[56:57]
	v_mul_f64 v[56:57], v[36:37], s[34:35]
	v_add_f64 v[38:39], v[50:51], v[38:39]
	v_mul_f64 v[50:51], v[36:37], s[40:41]
	v_mul_f64 v[36:37], v[36:37], s[20:21]
	v_add_f64 v[16:17], v[110:111], v[16:17]
	v_add_f64 v[20:21], v[30:31], v[20:21]
	v_fma_f64 v[30:31], v[48:49], s[18:19], v[170:171]
	v_add_f64 v[12:13], v[22:23], v[114:115]
	v_fma_f64 v[22:23], v[48:49], s[6:7], -v[172:173]
	v_add_f64 v[42:43], v[234:235], v[42:43]
	v_add_f64 v[34:35], v[44:45], v[34:35]
	;; [unrolled: 1-line block ×3, first 2 shown]
	v_fma_f64 v[46:47], v[48:49], s[6:7], v[172:173]
	v_add_f64 v[112:113], v[236:237], v[112:113]
	v_add_f64 v[2:3], v[32:33], v[2:3]
	;; [unrolled: 1-line block ×4, first 2 shown]
	v_mul_f64 v[14:15], v[8:9], s[34:35]
	v_add_f64 v[60:61], v[60:61], v[95:96]
	v_add_f64 v[4:5], v[64:65], v[4:5]
	v_fma_f64 v[32:33], v[48:49], s[10:11], -v[18:19]
	v_fma_f64 v[18:19], v[48:49], s[10:11], v[18:19]
	v_fma_f64 v[54:55], v[48:49], s[0:1], -v[58:59]
	v_fma_f64 v[58:59], v[48:49], s[0:1], v[58:59]
	v_fma_f64 v[64:65], v[48:49], s[22:23], -v[56:57]
	v_fma_f64 v[97:98], v[48:49], s[14:15], -v[36:37]
	v_fma_f64 v[36:37], v[48:49], s[14:15], v[36:37]
	v_fma_f64 v[56:57], v[48:49], s[22:23], v[56:57]
	v_add_f64 v[16:17], v[30:31], v[16:17]
	v_fma_f64 v[30:31], v[48:49], s[16:17], -v[52:53]
	v_fma_f64 v[52:53], v[48:49], s[16:17], v[52:53]
	v_fma_f64 v[95:96], v[48:49], s[4:5], -v[50:51]
	v_fma_f64 v[50:51], v[48:49], s[4:5], v[50:51]
	v_mul_f64 v[48:49], v[8:9], s[38:39]
	v_add_f64 v[20:21], v[22:23], v[20:21]
	v_mul_f64 v[22:23], v[8:9], s[28:29]
	v_add_f64 v[42:43], v[118:119], v[42:43]
	;; [unrolled: 2-line block ×5, first 2 shown]
	v_mul_f64 v[32:33], v[8:9], s[20:21]
	v_mul_f64 v[8:9], v[8:9], s[42:43]
	v_add_f64 v[38:39], v[54:55], v[38:39]
	v_add_f64 v[18:19], v[18:19], v[40:41]
	v_add_f64 v[40:41], v[58:59], v[60:61]
	v_add_f64 v[2:3], v[36:37], v[2:3]
	v_fma_f64 v[36:37], v[10:11], s[22:23], -v[14:15]
	v_add_f64 v[44:45], v[97:98], v[44:45]
	v_add_f64 v[0:1], v[6:7], v[0:1]
	;; [unrolled: 1-line block ×5, first 2 shown]
	v_fma_f64 v[50:51], v[10:11], s[0:1], -v[48:49]
	v_fma_f64 v[48:49], v[10:11], s[0:1], v[48:49]
	v_fma_f64 v[54:55], v[10:11], s[18:19], -v[22:23]
	v_add_f64 v[30:31], v[30:31], v[42:43]
	v_fma_f64 v[56:57], v[10:11], s[4:5], -v[99:100]
	v_add_f64 v[12:13], v[95:96], v[12:13]
	v_fma_f64 v[60:61], v[10:11], s[16:17], -v[46:47]
	v_add_f64 v[42:43], v[64:65], v[62:63]
	v_fma_f64 v[62:63], v[10:11], s[6:7], -v[104:105]
	v_fma_f64 v[64:65], v[10:11], s[6:7], v[104:105]
	v_fma_f64 v[66:67], v[10:11], s[14:15], -v[32:33]
	v_fma_f64 v[95:96], v[10:11], s[10:11], -v[8:9]
	v_fma_f64 v[8:9], v[10:11], s[10:11], v[8:9]
	v_fma_f64 v[32:33], v[10:11], s[14:15], v[32:33]
	;; [unrolled: 1-line block ×6, first 2 shown]
	v_add_f64 v[4:5], v[36:37], v[4:5]
	v_add_f64 v[6:7], v[50:51], v[20:21]
	;; [unrolled: 1-line block ×16, first 2 shown]
	v_lshl_add_u32 v16, v102, 7, v90
	ds_write2_b64 v16, v[0:1], v[4:5] offset1:1
	ds_write2_b64 v16, v[6:7], v[20:21] offset0:2 offset1:3
	ds_write2_b64 v16, v[24:25], v[28:29] offset0:4 offset1:5
	;; [unrolled: 1-line block ×7, first 2 shown]
	ds_write_b64 v16, v[10:11] offset:128
.LBB0_17:
	s_or_b32 exec_lo, exec_lo, s33
	v_and_b32_e32 v0, 0xff, v102
	v_mov_b32_e32 v1, 9
	s_waitcnt lgkmcnt(0)
	s_barrier
	buffer_gl0_inv
	v_mul_lo_u16 v0, 0xf1, v0
	s_mov_b32 s4, 0x134454ff
	s_mov_b32 s5, 0xbfee6f0e
	;; [unrolled: 1-line block ×4, first 2 shown]
	v_lshrrev_b16 v101, 12, v0
	s_mov_b32 s6, 0x4755a5e
	s_mov_b32 s7, 0xbfe2cf23
	s_mov_b32 s15, 0x3fe2cf23
	s_mov_b32 s14, s6
	v_mul_lo_u16 v0, v101, 17
	s_mov_b32 s0, 0x372fe950
	s_mov_b32 s1, 0x3fd3c6ef
	;; [unrolled: 1-line block ×4, first 2 shown]
	v_sub_nc_u16 v112, v102, v0
	s_mov_b32 s19, 0xbfd3c6ef
	s_mov_b32 s21, 0xbfe9e377
	;; [unrolled: 1-line block ×4, first 2 shown]
	v_mul_u32_u24_sdwa v0, v112, v1 dst_sel:DWORD dst_unused:UNUSED_PAD src0_sel:BYTE_0 src1_sel:DWORD
	v_mov_b32_e32 v113, 0x550
	v_lshlrev_b32_e32 v32, 4, v0
	s_clause 0x8
	global_load_dwordx4 v[0:3], v32, s[8:9] offset:32
	global_load_dwordx4 v[4:7], v32, s[8:9] offset:64
	;; [unrolled: 1-line block ×4, first 2 shown]
	global_load_dwordx4 v[16:19], v32, s[8:9]
	global_load_dwordx4 v[20:23], v32, s[8:9] offset:16
	global_load_dwordx4 v[24:27], v32, s[8:9] offset:48
	;; [unrolled: 1-line block ×4, first 2 shown]
	ds_read2_b64 v[36:39], v91 offset0:84 offset1:254
	ds_read2_b64 v[40:43], v92 offset0:40 offset1:210
	;; [unrolled: 1-line block ×4, first 2 shown]
	ds_read2_b64 v[52:55], v90 offset1:170
	s_waitcnt vmcnt(0) lgkmcnt(0)
	s_barrier
	buffer_gl0_inv
	v_mul_f64 v[56:57], v[86:87], v[2:3]
	v_mul_f64 v[58:59], v[82:83], v[6:7]
	;; [unrolled: 1-line block ×12, first 2 shown]
	v_fma_f64 v[38:39], v[38:39], v[0:1], -v[56:57]
	v_fma_f64 v[42:43], v[42:43], v[4:5], -v[58:59]
	;; [unrolled: 1-line block ×4, first 2 shown]
	v_mul_f64 v[56:57], v[40:41], v[26:27]
	v_mul_f64 v[26:27], v[80:81], v[26:27]
	;; [unrolled: 1-line block ×6, first 2 shown]
	v_fma_f64 v[0:1], v[86:87], v[0:1], v[2:3]
	v_fma_f64 v[2:3], v[82:83], v[4:5], v[6:7]
	;; [unrolled: 1-line block ×4, first 2 shown]
	v_fma_f64 v[8:9], v[54:55], v[16:17], -v[64:65]
	v_fma_f64 v[10:11], v[84:85], v[20:21], v[66:67]
	v_fma_f64 v[20:21], v[36:37], v[20:21], -v[22:23]
	v_fma_f64 v[16:17], v[70:71], v[16:17], v[18:19]
	v_add_f64 v[12:13], v[42:43], v[46:47]
	v_add_f64 v[14:15], v[38:39], v[50:51]
	v_fma_f64 v[22:23], v[80:81], v[24:25], v[56:57]
	v_fma_f64 v[24:25], v[40:41], v[24:25], -v[26:27]
	v_fma_f64 v[26:27], v[76:77], v[28:29], v[58:59]
	v_fma_f64 v[28:29], v[44:45], v[28:29], -v[30:31]
	v_fma_f64 v[36:37], v[48:49], v[32:33], -v[60:61]
	v_fma_f64 v[30:31], v[72:73], v[32:33], v[34:35]
	v_add_f64 v[70:71], v[38:39], -v[50:51]
	v_add_f64 v[72:73], v[38:39], -v[42:43]
	v_add_f64 v[18:19], v[2:3], v[4:5]
	v_add_f64 v[32:33], v[0:1], v[6:7]
	v_add_f64 v[34:35], v[0:1], -v[6:7]
	v_add_f64 v[40:41], v[2:3], -v[4:5]
	;; [unrolled: 1-line block ×6, first 2 shown]
	v_add_f64 v[44:45], v[68:69], v[10:11]
	v_add_f64 v[106:107], v[0:1], -v[2:3]
	v_add_f64 v[108:109], v[6:7], -v[4:5]
	;; [unrolled: 1-line block ×3, first 2 shown]
	v_fma_f64 v[12:13], v[12:13], -0.5, v[8:9]
	v_fma_f64 v[14:15], v[14:15], -0.5, v[8:9]
	v_add_f64 v[58:59], v[10:11], -v[22:23]
	v_add_f64 v[64:65], v[22:23], -v[10:11]
	v_add_f64 v[48:49], v[22:23], v[26:27]
	v_add_f64 v[95:96], v[24:25], v[28:29]
	v_add_f64 v[54:55], v[20:21], -v[36:37]
	v_add_f64 v[62:63], v[10:11], v[30:31]
	v_add_f64 v[104:105], v[20:21], v[36:37]
	v_add_f64 v[56:57], v[24:25], -v[28:29]
	v_fma_f64 v[18:19], v[18:19], -0.5, v[16:17]
	v_fma_f64 v[32:33], v[32:33], -0.5, v[16:17]
	v_add_f64 v[16:17], v[16:17], v[0:1]
	v_add_f64 v[0:1], v[2:3], -v[0:1]
	v_add_f64 v[60:61], v[30:31], -v[26:27]
	v_add_f64 v[82:83], v[52:53], v[20:21]
	v_add_f64 v[10:11], v[10:11], -v[30:31]
	v_add_f64 v[97:98], v[22:23], -v[26:27]
	v_add_f64 v[8:9], v[8:9], v[38:39]
	v_add_f64 v[22:23], v[44:45], v[22:23]
	v_add_f64 v[66:67], v[26:27], -v[30:31]
	v_add_f64 v[99:100], v[20:21], -v[24:25]
	v_fma_f64 v[84:85], v[34:35], s[10:11], v[12:13]
	v_fma_f64 v[86:87], v[40:41], s[4:5], v[14:15]
	v_fma_f64 v[14:15], v[40:41], s[10:11], v[14:15]
	v_fma_f64 v[12:13], v[34:35], s[4:5], v[12:13]
	v_fma_f64 v[48:49], v[48:49], -0.5, v[68:69]
	v_fma_f64 v[38:39], v[95:96], -0.5, v[52:53]
	v_add_f64 v[20:21], v[24:25], -v[20:21]
	v_fma_f64 v[62:63], v[62:63], -0.5, v[68:69]
	v_add_f64 v[68:69], v[72:73], v[74:75]
	v_add_f64 v[72:73], v[76:77], v[78:79]
	v_fma_f64 v[74:75], v[70:71], s[4:5], v[18:19]
	v_fma_f64 v[18:19], v[70:71], s[10:11], v[18:19]
	;; [unrolled: 1-line block ×4, first 2 shown]
	v_fma_f64 v[44:45], v[104:105], -0.5, v[52:53]
	v_add_f64 v[2:3], v[16:17], v[2:3]
	v_add_f64 v[16:17], v[106:107], v[108:109]
	;; [unrolled: 1-line block ×7, first 2 shown]
	v_fma_f64 v[78:79], v[40:41], s[14:15], v[84:85]
	v_fma_f64 v[84:85], v[34:35], s[14:15], v[86:87]
	;; [unrolled: 1-line block ×6, first 2 shown]
	v_add_f64 v[34:35], v[36:37], -v[28:29]
	v_fma_f64 v[86:87], v[56:57], s[10:11], v[62:63]
	v_fma_f64 v[62:63], v[56:57], s[4:5], v[62:63]
	v_add_f64 v[40:41], v[28:29], -v[36:37]
	v_fma_f64 v[74:75], v[80:81], s[6:7], v[74:75]
	v_fma_f64 v[18:19], v[80:81], s[14:15], v[18:19]
	;; [unrolled: 1-line block ×8, first 2 shown]
	v_add_f64 v[2:3], v[2:3], v[4:5]
	v_add_f64 v[60:61], v[64:65], v[66:67]
	v_add_f64 v[24:25], v[24:25], v[28:29]
	v_add_f64 v[8:9], v[8:9], v[46:47]
	v_fma_f64 v[70:71], v[68:69], s[0:1], v[78:79]
	v_fma_f64 v[78:79], v[72:73], s[0:1], v[84:85]
	;; [unrolled: 1-line block ×6, first 2 shown]
	v_add_f64 v[34:35], v[99:100], v[34:35]
	v_fma_f64 v[52:53], v[54:55], s[6:7], v[86:87]
	v_fma_f64 v[54:55], v[54:55], s[14:15], v[62:63]
	v_add_f64 v[20:21], v[20:21], v[40:41]
	v_fma_f64 v[56:57], v[16:17], s[0:1], v[74:75]
	v_fma_f64 v[16:17], v[16:17], s[0:1], v[18:19]
	;; [unrolled: 1-line block ×4, first 2 shown]
	v_add_f64 v[22:23], v[22:23], v[30:31]
	v_fma_f64 v[26:27], v[97:98], s[14:15], v[26:27]
	v_fma_f64 v[28:29], v[97:98], s[6:7], v[38:39]
	;; [unrolled: 1-line block ×4, first 2 shown]
	v_add_f64 v[2:3], v[2:3], v[6:7]
	v_add_f64 v[24:25], v[24:25], v[36:37]
	;; [unrolled: 1-line block ×3, first 2 shown]
	v_mul_f64 v[32:33], v[70:71], s[6:7]
	v_mul_f64 v[62:63], v[78:79], s[4:5]
	;; [unrolled: 1-line block ×4, first 2 shown]
	v_fma_f64 v[4:5], v[58:59], s[0:1], v[4:5]
	v_mul_f64 v[40:41], v[70:71], s[16:17]
	v_mul_f64 v[42:43], v[78:79], s[0:1]
	;; [unrolled: 1-line block ×4, first 2 shown]
	v_fma_f64 v[6:7], v[58:59], s[0:1], v[48:49]
	v_fma_f64 v[38:39], v[60:61], s[0:1], v[52:53]
	;; [unrolled: 1-line block ×3, first 2 shown]
	v_mov_b32_e32 v54, 3
	v_mul_u32_u24_sdwa v55, v101, v113 dst_sel:DWORD dst_unused:UNUSED_PAD src0_sel:WORD_0 src1_sel:DWORD
	v_fma_f64 v[26:27], v[34:35], s[0:1], v[26:27]
	v_fma_f64 v[28:29], v[34:35], s[0:1], v[28:29]
	;; [unrolled: 1-line block ×4, first 2 shown]
	v_add_f64 v[20:21], v[22:23], v[2:3]
	v_add_f64 v[2:3], v[22:23], -v[2:3]
	v_lshlrev_b32_sdwa v54, v54, v112 dst_sel:DWORD dst_unused:UNUSED_PAD src0_sel:DWORD src1_sel:BYTE_0
	v_fma_f64 v[32:33], v[56:57], s[16:17], v[32:33]
	v_fma_f64 v[46:47], v[18:19], s[0:1], v[62:63]
	;; [unrolled: 1-line block ×4, first 2 shown]
	v_add3_u32 v50, 0, v55, v54
	v_fma_f64 v[34:35], v[56:57], s[14:15], v[40:41]
	v_fma_f64 v[18:19], v[18:19], s[10:11], v[42:43]
	;; [unrolled: 1-line block ×4, first 2 shown]
	v_add_f64 v[40:41], v[24:25], v[8:9]
	v_add_f64 v[24:25], v[24:25], -v[8:9]
	v_add_f64 v[14:15], v[4:5], v[32:33]
	v_add_f64 v[16:17], v[38:39], v[46:47]
	v_add_f64 v[22:23], v[44:45], v[48:49]
	v_add_f64 v[36:37], v[6:7], v[52:53]
	v_add_f64 v[4:5], v[4:5], -v[32:33]
	v_add_f64 v[32:33], v[38:39], -v[46:47]
	;; [unrolled: 1-line block ×4, first 2 shown]
	v_add_f64 v[42:43], v[26:27], v[34:35]
	v_add_f64 v[44:45], v[30:31], v[18:19]
	;; [unrolled: 1-line block ×4, first 2 shown]
	v_add_f64 v[26:27], v[26:27], -v[34:35]
	v_add_f64 v[30:31], v[30:31], -v[18:19]
	v_add_f64 v[34:35], v[10:11], -v[0:1]
	v_add_f64 v[28:29], v[28:29], -v[12:13]
	ds_write2_b64 v50, v[20:21], v[14:15] offset1:17
	ds_write2_b64 v50, v[16:17], v[22:23] offset0:34 offset1:51
	ds_write2_b64 v50, v[36:37], v[2:3] offset0:68 offset1:85
	;; [unrolled: 1-line block ×4, first 2 shown]
	s_waitcnt lgkmcnt(0)
	s_barrier
	buffer_gl0_inv
	ds_read2_b64 v[0:3], v90 offset1:170
	ds_read2_b64 v[12:15], v91 offset0:84 offset1:254
	ds_read2_b64 v[4:7], v92 offset0:40 offset1:210
	;; [unrolled: 1-line block ×4, first 2 shown]
	s_waitcnt lgkmcnt(0)
	s_barrier
	buffer_gl0_inv
	ds_write2_b64 v50, v[40:41], v[42:43] offset1:17
	ds_write2_b64 v50, v[44:45], v[46:47] offset0:34 offset1:51
	ds_write2_b64 v50, v[48:49], v[24:25] offset0:68 offset1:85
	;; [unrolled: 1-line block ×4, first 2 shown]
	s_waitcnt lgkmcnt(0)
	s_barrier
	buffer_gl0_inv
	s_and_saveexec_b32 s22, vcc_lo
	s_cbranch_execz .LBB0_19
; %bb.18:
	v_mul_u32_u24_e32 v20, 9, v102
	v_add_nc_u32_e32 v98, 0xaa, v103
	v_add_nc_u32_e32 v99, 0x154, v103
	;; [unrolled: 1-line block ×4, first 2 shown]
	v_lshlrev_b32_e32 v20, 4, v20
	v_add_nc_u32_e32 v102, 0x352, v103
	v_mad_u64_u32 v[76:77], null, s2, v103, 0
	v_add_nc_u32_e32 v104, 0x3fc, v103
	v_add_co_u32 v20, s8, s8, v20
	v_add_co_ci_u32_e64 v21, null, s9, 0, s8
	v_lshlrev_b64 v[78:79], 4, v[88:89]
	v_add_co_u32 v52, vcc_lo, 0x800, v20
	v_add_co_ci_u32_e32 v53, vcc_lo, 0, v21, vcc_lo
	v_add_co_u32 v48, vcc_lo, 0x9d0, v20
	v_add_co_ci_u32_e32 v49, vcc_lo, 0, v21, vcc_lo
	;; [unrolled: 2-line block ×3, first 2 shown]
	s_clause 0x8
	global_load_dwordx4 v[20:23], v[52:53], off offset:464
	global_load_dwordx4 v[24:27], v[48:49], off offset:32
	;; [unrolled: 1-line block ×9, first 2 shown]
	v_add_nc_u32_e32 v105, 0x4a6, v103
	v_add_nc_u32_e32 v107, 0x5fa, v103
	v_mad_u64_u32 v[80:81], null, s2, v98, 0
	v_mad_u64_u32 v[82:83], null, s2, v99, 0
	v_add_nc_u32_e32 v106, 0x550, v103
	v_mad_u64_u32 v[84:85], null, s2, v100, 0
	v_mad_u64_u32 v[86:87], null, s2, v101, 0
	;; [unrolled: 1-line block ×3, first 2 shown]
	v_add_nc_u32_e32 v60, 0x800, v90
	v_add_nc_u32_e32 v64, 0x1400, v90
	;; [unrolled: 1-line block ×4, first 2 shown]
	ds_read2_b64 v[56:59], v90 offset1:170
	v_mad_u64_u32 v[90:91], null, s2, v104, 0
	v_mad_u64_u32 v[92:93], null, s2, v105, 0
	;; [unrolled: 1-line block ×4, first 2 shown]
	v_add_co_u32 v126, vcc_lo, s12, v78
	v_mad_u64_u32 v[77:78], null, s3, v103, v[77:78]
	v_add_co_ci_u32_e32 v127, vcc_lo, s13, v79, vcc_lo
	v_mov_b32_e32 v78, v81
	v_mov_b32_e32 v79, v83
	;; [unrolled: 1-line block ×8, first 2 shown]
	v_mad_u64_u32 v[97:98], null, s3, v98, v[78:79]
	v_mov_b32_e32 v91, v95
	v_mad_u64_u32 v[78:79], null, s3, v99, v[79:80]
	v_mad_u64_u32 v[98:99], null, s3, v100, v[81:82]
	;; [unrolled: 1-line block ×7, first 2 shown]
	v_mov_b32_e32 v81, v97
	v_mov_b32_e32 v83, v78
	v_mad_u64_u32 v[104:105], null, s3, v107, v[93:94]
	v_mov_b32_e32 v85, v98
	v_mov_b32_e32 v87, v99
	;; [unrolled: 1-line block ×6, first 2 shown]
	v_lshlrev_b64 v[78:79], 4, v[80:81]
	v_lshlrev_b64 v[80:81], 4, v[82:83]
	ds_read2_b64 v[60:63], v60 offset0:84 offset1:254
	ds_read2_b64 v[64:67], v64 offset0:40 offset1:210
	;; [unrolled: 1-line block ×4, first 2 shown]
	v_mov_b32_e32 v97, v104
	v_lshlrev_b64 v[76:77], 4, v[76:77]
	v_lshlrev_b64 v[84:85], 4, v[84:85]
	;; [unrolled: 1-line block ×6, first 2 shown]
	v_add_co_u32 v76, vcc_lo, v126, v76
	v_add_co_ci_u32_e32 v77, vcc_lo, v127, v77, vcc_lo
	s_waitcnt vmcnt(8)
	v_mul_f64 v[82:83], v[6:7], v[22:23]
	s_waitcnt vmcnt(7)
	v_mul_f64 v[98:99], v[10:11], v[26:27]
	;; [unrolled: 2-line block ×4, first 2 shown]
	v_mul_f64 v[14:15], v[14:15], v[28:29]
	v_mul_f64 v[6:7], v[6:7], v[20:21]
	;; [unrolled: 1-line block ×4, first 2 shown]
	s_waitcnt vmcnt(0)
	v_mul_f64 v[112:113], v[2:3], v[54:55]
	v_mul_f64 v[104:105], v[12:13], v[38:39]
	v_mul_f64 v[106:107], v[4:5], v[42:43]
	v_mul_f64 v[108:109], v[16:17], v[46:47]
	v_mul_f64 v[110:111], v[8:9], v[50:51]
	s_waitcnt lgkmcnt(3)
	v_mul_f64 v[38:39], v[60:61], v[38:39]
	s_waitcnt lgkmcnt(1)
	v_mul_f64 v[46:47], v[68:69], v[46:47]
	v_mul_f64 v[42:43], v[64:65], v[42:43]
	s_waitcnt lgkmcnt(0)
	v_mul_f64 v[50:51], v[72:73], v[50:51]
	v_mul_f64 v[2:3], v[2:3], v[52:53]
	v_fma_f64 v[20:21], v[66:67], v[20:21], -v[82:83]
	v_fma_f64 v[24:25], v[74:75], v[24:25], -v[98:99]
	;; [unrolled: 1-line block ×4, first 2 shown]
	v_fma_f64 v[14:15], v[62:63], v[30:31], v[14:15]
	v_fma_f64 v[6:7], v[66:67], v[22:23], v[6:7]
	;; [unrolled: 1-line block ×4, first 2 shown]
	v_fma_f64 v[22:23], v[58:59], v[52:53], -v[112:113]
	v_fma_f64 v[60:61], v[60:61], v[36:37], -v[104:105]
	v_fma_f64 v[64:65], v[64:65], v[40:41], -v[106:107]
	v_fma_f64 v[68:69], v[68:69], v[44:45], -v[108:109]
	v_fma_f64 v[72:73], v[72:73], v[48:49], -v[110:111]
	v_fma_f64 v[12:13], v[12:13], v[36:37], v[38:39]
	v_fma_f64 v[16:17], v[16:17], v[44:45], v[46:47]
	;; [unrolled: 1-line block ×5, first 2 shown]
	v_add_co_u32 v40, vcc_lo, v126, v78
	v_add_co_ci_u32_e32 v41, vcc_lo, v127, v79, vcc_lo
	v_add_co_u32 v42, vcc_lo, v126, v80
	v_add_f64 v[26:27], v[20:21], v[24:25]
	v_add_f64 v[30:31], v[28:29], v[32:33]
	v_add_co_ci_u32_e32 v43, vcc_lo, v127, v81, vcc_lo
	v_add_f64 v[54:55], v[14:15], v[18:19]
	v_add_f64 v[52:53], v[6:7], v[10:11]
	v_add_f64 v[58:59], v[14:15], -v[18:19]
	v_add_f64 v[62:63], v[6:7], -v[10:11]
	;; [unrolled: 1-line block ×5, first 2 shown]
	v_add_f64 v[38:39], v[64:65], v[72:73]
	v_add_f64 v[66:67], v[18:19], -v[10:11]
	v_add_f64 v[70:71], v[20:21], -v[24:25]
	;; [unrolled: 1-line block ×5, first 2 shown]
	v_add_f64 v[98:99], v[60:61], v[68:69]
	v_add_f64 v[104:105], v[20:21], -v[28:29]
	v_add_f64 v[106:107], v[24:25], -v[32:33]
	v_add_f64 v[108:109], v[4:5], v[8:9]
	v_add_f64 v[110:111], v[12:13], v[16:17]
	v_fma_f64 v[26:27], v[26:27], -0.5, v[22:23]
	v_fma_f64 v[30:31], v[30:31], -0.5, v[22:23]
	v_add_f64 v[22:23], v[28:29], v[22:23]
	v_add_co_u32 v44, vcc_lo, v126, v84
	v_fma_f64 v[28:29], v[52:53], -0.5, v[2:3]
	v_fma_f64 v[52:53], v[54:55], -0.5, v[2:3]
	v_add_f64 v[46:47], v[12:13], -v[16:17]
	v_add_f64 v[112:113], v[60:61], v[56:57]
	v_add_f64 v[54:55], v[12:13], -v[4:5]
	v_add_f64 v[122:123], v[4:5], -v[12:13]
	v_add_f64 v[12:13], v[0:1], v[12:13]
	v_add_f64 v[2:3], v[14:15], v[2:3]
	v_lshlrev_b64 v[82:83], 4, v[94:95]
	v_lshlrev_b64 v[94:95], 4, v[96:97]
	v_add_co_ci_u32_e32 v45, vcc_lo, v127, v85, vcc_lo
	v_add_f64 v[48:49], v[4:5], -v[8:9]
	v_add_f64 v[84:85], v[64:65], -v[60:61]
	;; [unrolled: 1-line block ×5, first 2 shown]
	v_fma_f64 v[116:117], v[58:59], s[4:5], v[26:27]
	v_fma_f64 v[118:119], v[62:63], s[10:11], v[30:31]
	;; [unrolled: 1-line block ×4, first 2 shown]
	v_add_f64 v[120:121], v[64:65], -v[72:73]
	v_add_f64 v[60:61], v[60:61], -v[68:69]
	v_fma_f64 v[14:15], v[38:39], -0.5, v[56:57]
	v_fma_f64 v[38:39], v[98:99], -0.5, v[56:57]
	v_add_f64 v[34:35], v[34:35], v[36:37]
	v_add_f64 v[36:37], v[50:51], v[66:67]
	v_fma_f64 v[50:51], v[108:109], -0.5, v[0:1]
	v_fma_f64 v[0:1], v[110:111], -0.5, v[0:1]
	v_add_f64 v[56:57], v[78:79], v[80:81]
	v_add_f64 v[66:67], v[104:105], v[106:107]
	v_fma_f64 v[78:79], v[74:75], s[10:11], v[28:29]
	v_fma_f64 v[80:81], v[70:71], s[4:5], v[52:53]
	;; [unrolled: 1-line block ×4, first 2 shown]
	v_add_f64 v[64:65], v[64:65], v[112:113]
	v_add_f64 v[20:21], v[20:21], v[22:23]
	;; [unrolled: 1-line block ×4, first 2 shown]
	v_fma_f64 v[98:99], v[62:63], s[6:7], v[116:117]
	v_fma_f64 v[104:105], v[58:59], s[6:7], v[118:119]
	;; [unrolled: 1-line block ×4, first 2 shown]
	v_add_f64 v[114:115], v[16:17], -v[8:9]
	v_add_f64 v[124:125], v[8:9], -v[16:17]
	v_add_f64 v[58:59], v[84:85], v[96:97]
	v_add_f64 v[62:63], v[100:101], v[102:103]
	v_fma_f64 v[6:7], v[46:47], s[4:5], v[14:15]
	v_fma_f64 v[12:13], v[48:49], s[10:11], v[38:39]
	;; [unrolled: 1-line block ×12, first 2 shown]
	v_add_f64 v[64:65], v[72:73], v[64:65]
	v_add_f64 v[20:21], v[24:25], v[20:21]
	v_fma_f64 v[70:71], v[56:57], s[0:1], v[98:99]
	v_fma_f64 v[74:75], v[66:67], s[0:1], v[104:105]
	;; [unrolled: 1-line block ×4, first 2 shown]
	v_add_f64 v[4:5], v[4:5], v[8:9]
	v_add_f64 v[2:3], v[10:11], v[2:3]
	;; [unrolled: 1-line block ×4, first 2 shown]
	v_fma_f64 v[6:7], v[48:49], s[6:7], v[6:7]
	v_fma_f64 v[8:9], v[46:47], s[6:7], v[12:13]
	v_fma_f64 v[10:11], v[46:47], s[14:15], v[22:23]
	v_fma_f64 v[12:13], v[48:49], s[14:15], v[14:15]
	v_fma_f64 v[14:15], v[120:121], s[14:15], v[38:39]
	v_fma_f64 v[22:23], v[60:61], s[14:15], v[84:85]
	v_fma_f64 v[0:1], v[60:61], s[6:7], v[0:1]
	v_fma_f64 v[24:25], v[120:121], s[6:7], v[50:51]
	v_fma_f64 v[38:39], v[36:37], s[0:1], v[78:79]
	v_fma_f64 v[46:47], v[62:63], s[0:1], v[80:81]
	v_fma_f64 v[48:49], v[62:63], s[0:1], v[52:53]
	v_fma_f64 v[28:29], v[36:37], s[0:1], v[28:29]
	v_add_f64 v[64:65], v[68:69], v[64:65]
	v_add_f64 v[20:21], v[32:33], v[20:21]
	v_mul_f64 v[36:37], v[70:71], s[20:21]
	v_mul_f64 v[50:51], v[74:75], s[18:19]
	;; [unrolled: 1-line block ×8, first 2 shown]
	v_add_f64 v[4:5], v[16:17], v[4:5]
	v_add_f64 v[16:17], v[18:19], v[2:3]
	v_fma_f64 v[32:33], v[34:35], s[0:1], v[6:7]
	v_fma_f64 v[8:9], v[58:59], s[0:1], v[8:9]
	;; [unrolled: 1-line block ×6, first 2 shown]
	v_add_co_u32 v70, vcc_lo, v126, v86
	v_add_co_ci_u32_e32 v71, vcc_lo, v127, v87, vcc_lo
	v_add_f64 v[6:7], v[64:65], v[20:21]
	v_fma_f64 v[22:23], v[38:39], s[14:15], v[36:37]
	v_fma_f64 v[34:35], v[46:47], s[10:11], v[50:51]
	;; [unrolled: 1-line block ×10, first 2 shown]
	v_add_f64 v[0:1], v[4:5], -v[16:17]
	v_add_f64 v[4:5], v[4:5], v[16:17]
	v_add_f64 v[2:3], v[64:65], -v[20:21]
	v_add_co_u32 v62, vcc_lo, v126, v88
	v_add_co_ci_u32_e32 v63, vcc_lo, v127, v89, vcc_lo
	v_add_co_u32 v66, vcc_lo, v126, v90
	v_add_co_ci_u32_e32 v67, vcc_lo, v127, v91, vcc_lo
	v_add_f64 v[10:11], v[32:33], -v[22:23]
	v_add_f64 v[14:15], v[8:9], -v[34:35]
	v_add_f64 v[22:23], v[32:33], v[22:23]
	v_add_f64 v[26:27], v[8:9], v[34:35]
	;; [unrolled: 1-line block ×8, first 2 shown]
	v_add_f64 v[18:19], v[58:59], -v[36:37]
	v_add_f64 v[38:39], v[12:13], -v[54:55]
	;; [unrolled: 1-line block ×6, first 2 shown]
	v_add_co_u32 v46, vcc_lo, v126, v92
	v_add_co_ci_u32_e32 v47, vcc_lo, v127, v93, vcc_lo
	v_add_co_u32 v48, vcc_lo, v126, v82
	v_add_co_ci_u32_e32 v49, vcc_lo, v127, v83, vcc_lo
	;; [unrolled: 2-line block ×3, first 2 shown]
	global_store_dwordx4 v[76:77], v[4:7], off
	global_store_dwordx4 v[40:41], v[32:35], off
	;; [unrolled: 1-line block ×10, first 2 shown]
.LBB0_19:
	s_endpgm
	.section	.rodata,"a",@progbits
	.p2align	6, 0x0
	.amdhsa_kernel fft_rtc_back_len1700_factors_17_10_10_wgs_170_tpt_170_halfLds_dp_ip_CI_sbrr_dirReg
		.amdhsa_group_segment_fixed_size 0
		.amdhsa_private_segment_fixed_size 0
		.amdhsa_kernarg_size 88
		.amdhsa_user_sgpr_count 6
		.amdhsa_user_sgpr_private_segment_buffer 1
		.amdhsa_user_sgpr_dispatch_ptr 0
		.amdhsa_user_sgpr_queue_ptr 0
		.amdhsa_user_sgpr_kernarg_segment_ptr 1
		.amdhsa_user_sgpr_dispatch_id 0
		.amdhsa_user_sgpr_flat_scratch_init 0
		.amdhsa_user_sgpr_private_segment_size 0
		.amdhsa_wavefront_size32 1
		.amdhsa_uses_dynamic_stack 0
		.amdhsa_system_sgpr_private_segment_wavefront_offset 0
		.amdhsa_system_sgpr_workgroup_id_x 1
		.amdhsa_system_sgpr_workgroup_id_y 0
		.amdhsa_system_sgpr_workgroup_id_z 0
		.amdhsa_system_sgpr_workgroup_info 0
		.amdhsa_system_vgpr_workitem_id 0
		.amdhsa_next_free_vgpr 240
		.amdhsa_next_free_sgpr 58
		.amdhsa_reserve_vcc 1
		.amdhsa_reserve_flat_scratch 0
		.amdhsa_float_round_mode_32 0
		.amdhsa_float_round_mode_16_64 0
		.amdhsa_float_denorm_mode_32 3
		.amdhsa_float_denorm_mode_16_64 3
		.amdhsa_dx10_clamp 1
		.amdhsa_ieee_mode 1
		.amdhsa_fp16_overflow 0
		.amdhsa_workgroup_processor_mode 1
		.amdhsa_memory_ordered 1
		.amdhsa_forward_progress 0
		.amdhsa_shared_vgpr_count 0
		.amdhsa_exception_fp_ieee_invalid_op 0
		.amdhsa_exception_fp_denorm_src 0
		.amdhsa_exception_fp_ieee_div_zero 0
		.amdhsa_exception_fp_ieee_overflow 0
		.amdhsa_exception_fp_ieee_underflow 0
		.amdhsa_exception_fp_ieee_inexact 0
		.amdhsa_exception_int_div_zero 0
	.end_amdhsa_kernel
	.text
.Lfunc_end0:
	.size	fft_rtc_back_len1700_factors_17_10_10_wgs_170_tpt_170_halfLds_dp_ip_CI_sbrr_dirReg, .Lfunc_end0-fft_rtc_back_len1700_factors_17_10_10_wgs_170_tpt_170_halfLds_dp_ip_CI_sbrr_dirReg
                                        ; -- End function
	.section	.AMDGPU.csdata,"",@progbits
; Kernel info:
; codeLenInByte = 13268
; NumSgprs: 60
; NumVgprs: 240
; ScratchSize: 0
; MemoryBound: 1
; FloatMode: 240
; IeeeMode: 1
; LDSByteSize: 0 bytes/workgroup (compile time only)
; SGPRBlocks: 7
; VGPRBlocks: 29
; NumSGPRsForWavesPerEU: 60
; NumVGPRsForWavesPerEU: 240
; Occupancy: 4
; WaveLimiterHint : 1
; COMPUTE_PGM_RSRC2:SCRATCH_EN: 0
; COMPUTE_PGM_RSRC2:USER_SGPR: 6
; COMPUTE_PGM_RSRC2:TRAP_HANDLER: 0
; COMPUTE_PGM_RSRC2:TGID_X_EN: 1
; COMPUTE_PGM_RSRC2:TGID_Y_EN: 0
; COMPUTE_PGM_RSRC2:TGID_Z_EN: 0
; COMPUTE_PGM_RSRC2:TIDIG_COMP_CNT: 0
	.text
	.p2alignl 6, 3214868480
	.fill 48, 4, 3214868480
	.type	__hip_cuid_319518b848cd7e72,@object ; @__hip_cuid_319518b848cd7e72
	.section	.bss,"aw",@nobits
	.globl	__hip_cuid_319518b848cd7e72
__hip_cuid_319518b848cd7e72:
	.byte	0                               ; 0x0
	.size	__hip_cuid_319518b848cd7e72, 1

	.ident	"AMD clang version 19.0.0git (https://github.com/RadeonOpenCompute/llvm-project roc-6.4.0 25133 c7fe45cf4b819c5991fe208aaa96edf142730f1d)"
	.section	".note.GNU-stack","",@progbits
	.addrsig
	.addrsig_sym __hip_cuid_319518b848cd7e72
	.amdgpu_metadata
---
amdhsa.kernels:
  - .args:
      - .actual_access:  read_only
        .address_space:  global
        .offset:         0
        .size:           8
        .value_kind:     global_buffer
      - .offset:         8
        .size:           8
        .value_kind:     by_value
      - .actual_access:  read_only
        .address_space:  global
        .offset:         16
        .size:           8
        .value_kind:     global_buffer
      - .actual_access:  read_only
        .address_space:  global
        .offset:         24
        .size:           8
        .value_kind:     global_buffer
      - .offset:         32
        .size:           8
        .value_kind:     by_value
      - .actual_access:  read_only
        .address_space:  global
        .offset:         40
        .size:           8
        .value_kind:     global_buffer
      - .actual_access:  read_only
        .address_space:  global
        .offset:         48
        .size:           8
        .value_kind:     global_buffer
      - .offset:         56
        .size:           4
        .value_kind:     by_value
      - .actual_access:  read_only
        .address_space:  global
        .offset:         64
        .size:           8
        .value_kind:     global_buffer
      - .actual_access:  read_only
        .address_space:  global
        .offset:         72
        .size:           8
        .value_kind:     global_buffer
      - .address_space:  global
        .offset:         80
        .size:           8
        .value_kind:     global_buffer
    .group_segment_fixed_size: 0
    .kernarg_segment_align: 8
    .kernarg_segment_size: 88
    .language:       OpenCL C
    .language_version:
      - 2
      - 0
    .max_flat_workgroup_size: 170
    .name:           fft_rtc_back_len1700_factors_17_10_10_wgs_170_tpt_170_halfLds_dp_ip_CI_sbrr_dirReg
    .private_segment_fixed_size: 0
    .sgpr_count:     60
    .sgpr_spill_count: 0
    .symbol:         fft_rtc_back_len1700_factors_17_10_10_wgs_170_tpt_170_halfLds_dp_ip_CI_sbrr_dirReg.kd
    .uniform_work_group_size: 1
    .uses_dynamic_stack: false
    .vgpr_count:     240
    .vgpr_spill_count: 0
    .wavefront_size: 32
    .workgroup_processor_mode: 1
amdhsa.target:   amdgcn-amd-amdhsa--gfx1030
amdhsa.version:
  - 1
  - 2
...

	.end_amdgpu_metadata
